;; amdgpu-corpus repo=ROCm/rocFFT kind=compiled arch=gfx1201 opt=O3
	.text
	.amdgcn_target "amdgcn-amd-amdhsa--gfx1201"
	.amdhsa_code_object_version 6
	.protected	fft_rtc_back_len1360_factors_17_5_16_wgs_255_tpt_85_halfLds_dp_op_CI_CI_unitstride_sbrr_R2C_dirReg ; -- Begin function fft_rtc_back_len1360_factors_17_5_16_wgs_255_tpt_85_halfLds_dp_op_CI_CI_unitstride_sbrr_R2C_dirReg
	.globl	fft_rtc_back_len1360_factors_17_5_16_wgs_255_tpt_85_halfLds_dp_op_CI_CI_unitstride_sbrr_R2C_dirReg
	.p2align	8
	.type	fft_rtc_back_len1360_factors_17_5_16_wgs_255_tpt_85_halfLds_dp_op_CI_CI_unitstride_sbrr_R2C_dirReg,@function
fft_rtc_back_len1360_factors_17_5_16_wgs_255_tpt_85_halfLds_dp_op_CI_CI_unitstride_sbrr_R2C_dirReg: ; @fft_rtc_back_len1360_factors_17_5_16_wgs_255_tpt_85_halfLds_dp_op_CI_CI_unitstride_sbrr_R2C_dirReg
; %bb.0:
	s_load_b128 s[8:11], s[0:1], 0x0
	v_mul_u32_u24_e32 v1, 0x304, v0
	s_clause 0x1
	s_load_b128 s[4:7], s[0:1], 0x58
	s_load_b128 s[12:15], s[0:1], 0x18
	v_mov_b32_e32 v5, 0
	v_lshrrev_b32_e32 v3, 16, v1
	v_mov_b32_e32 v1, 0
	v_mov_b32_e32 v2, 0
	s_delay_alu instid0(VALU_DEP_3) | instskip(NEXT) | instid1(VALU_DEP_2)
	v_mad_co_u64_u32 v[3:4], null, ttmp9, 3, v[3:4]
	v_dual_mov_b32 v4, v5 :: v_dual_mov_b32 v81, v2
	s_delay_alu instid0(VALU_DEP_1) | instskip(NEXT) | instid1(VALU_DEP_3)
	v_dual_mov_b32 v80, v1 :: v_dual_mov_b32 v85, v4
	v_mov_b32_e32 v84, v3
	s_wait_kmcnt 0x0
	v_cmp_lt_u64_e64 s2, s[10:11], 2
	s_delay_alu instid0(VALU_DEP_1)
	s_and_b32 vcc_lo, exec_lo, s2
	s_cbranch_vccnz .LBB0_8
; %bb.1:
	s_load_b64 s[2:3], s[0:1], 0x10
	v_dual_mov_b32 v1, 0 :: v_dual_mov_b32 v8, v4
	v_dual_mov_b32 v2, 0 :: v_dual_mov_b32 v7, v3
	s_add_nc_u64 s[16:17], s[14:15], 8
	s_add_nc_u64 s[18:19], s[12:13], 8
	s_mov_b64 s[20:21], 1
	s_delay_alu instid0(VALU_DEP_1)
	v_dual_mov_b32 v81, v2 :: v_dual_mov_b32 v80, v1
	s_wait_kmcnt 0x0
	s_add_nc_u64 s[22:23], s[2:3], 8
	s_mov_b32 s3, 0
.LBB0_2:                                ; =>This Inner Loop Header: Depth=1
	s_load_b64 s[24:25], s[22:23], 0x0
                                        ; implicit-def: $vgpr84_vgpr85
	s_mov_b32 s2, exec_lo
	s_wait_kmcnt 0x0
	v_or_b32_e32 v6, s25, v8
	s_delay_alu instid0(VALU_DEP_1)
	v_cmpx_ne_u64_e32 0, v[5:6]
	s_wait_alu 0xfffe
	s_xor_b32 s26, exec_lo, s2
	s_cbranch_execz .LBB0_4
; %bb.3:                                ;   in Loop: Header=BB0_2 Depth=1
	s_cvt_f32_u32 s2, s24
	s_cvt_f32_u32 s27, s25
	s_sub_nc_u64 s[30:31], 0, s[24:25]
	s_wait_alu 0xfffe
	s_delay_alu instid0(SALU_CYCLE_1) | instskip(SKIP_1) | instid1(SALU_CYCLE_2)
	s_fmamk_f32 s2, s27, 0x4f800000, s2
	s_wait_alu 0xfffe
	v_s_rcp_f32 s2, s2
	s_delay_alu instid0(TRANS32_DEP_1) | instskip(SKIP_1) | instid1(SALU_CYCLE_2)
	s_mul_f32 s2, s2, 0x5f7ffffc
	s_wait_alu 0xfffe
	s_mul_f32 s27, s2, 0x2f800000
	s_wait_alu 0xfffe
	s_delay_alu instid0(SALU_CYCLE_2) | instskip(SKIP_1) | instid1(SALU_CYCLE_2)
	s_trunc_f32 s27, s27
	s_wait_alu 0xfffe
	s_fmamk_f32 s2, s27, 0xcf800000, s2
	s_cvt_u32_f32 s29, s27
	s_wait_alu 0xfffe
	s_delay_alu instid0(SALU_CYCLE_1) | instskip(SKIP_1) | instid1(SALU_CYCLE_2)
	s_cvt_u32_f32 s28, s2
	s_wait_alu 0xfffe
	s_mul_u64 s[34:35], s[30:31], s[28:29]
	s_wait_alu 0xfffe
	s_mul_hi_u32 s37, s28, s35
	s_mul_i32 s36, s28, s35
	s_mul_hi_u32 s2, s28, s34
	s_mul_i32 s33, s29, s34
	s_wait_alu 0xfffe
	s_add_nc_u64 s[36:37], s[2:3], s[36:37]
	s_mul_hi_u32 s27, s29, s34
	s_mul_hi_u32 s38, s29, s35
	s_add_co_u32 s2, s36, s33
	s_wait_alu 0xfffe
	s_add_co_ci_u32 s2, s37, s27
	s_mul_i32 s34, s29, s35
	s_add_co_ci_u32 s35, s38, 0
	s_wait_alu 0xfffe
	s_add_nc_u64 s[34:35], s[2:3], s[34:35]
	s_wait_alu 0xfffe
	v_add_co_u32 v4, s2, s28, s34
	s_delay_alu instid0(VALU_DEP_1) | instskip(SKIP_1) | instid1(VALU_DEP_1)
	s_cmp_lg_u32 s2, 0
	s_add_co_ci_u32 s29, s29, s35
	v_readfirstlane_b32 s28, v4
	s_wait_alu 0xfffe
	s_delay_alu instid0(VALU_DEP_1)
	s_mul_u64 s[30:31], s[30:31], s[28:29]
	s_wait_alu 0xfffe
	s_mul_hi_u32 s35, s28, s31
	s_mul_i32 s34, s28, s31
	s_mul_hi_u32 s2, s28, s30
	s_mul_i32 s33, s29, s30
	s_wait_alu 0xfffe
	s_add_nc_u64 s[34:35], s[2:3], s[34:35]
	s_mul_hi_u32 s27, s29, s30
	s_mul_hi_u32 s28, s29, s31
	s_wait_alu 0xfffe
	s_add_co_u32 s2, s34, s33
	s_add_co_ci_u32 s2, s35, s27
	s_mul_i32 s30, s29, s31
	s_add_co_ci_u32 s31, s28, 0
	s_wait_alu 0xfffe
	s_add_nc_u64 s[30:31], s[2:3], s[30:31]
	s_wait_alu 0xfffe
	v_add_co_u32 v4, s2, v4, s30
	s_delay_alu instid0(VALU_DEP_1) | instskip(SKIP_1) | instid1(VALU_DEP_1)
	s_cmp_lg_u32 s2, 0
	s_add_co_ci_u32 s2, s29, s31
	v_mul_hi_u32 v6, v7, v4
	s_wait_alu 0xfffe
	v_mad_co_u64_u32 v[9:10], null, v7, s2, 0
	v_mad_co_u64_u32 v[11:12], null, v8, v4, 0
	;; [unrolled: 1-line block ×3, first 2 shown]
	s_delay_alu instid0(VALU_DEP_3) | instskip(SKIP_1) | instid1(VALU_DEP_4)
	v_add_co_u32 v4, vcc_lo, v6, v9
	s_wait_alu 0xfffd
	v_add_co_ci_u32_e32 v6, vcc_lo, 0, v10, vcc_lo
	s_delay_alu instid0(VALU_DEP_2) | instskip(SKIP_1) | instid1(VALU_DEP_2)
	v_add_co_u32 v4, vcc_lo, v4, v11
	s_wait_alu 0xfffd
	v_add_co_ci_u32_e32 v4, vcc_lo, v6, v12, vcc_lo
	s_wait_alu 0xfffd
	v_add_co_ci_u32_e32 v6, vcc_lo, 0, v14, vcc_lo
	s_delay_alu instid0(VALU_DEP_2) | instskip(SKIP_1) | instid1(VALU_DEP_2)
	v_add_co_u32 v4, vcc_lo, v4, v13
	s_wait_alu 0xfffd
	v_add_co_ci_u32_e32 v6, vcc_lo, 0, v6, vcc_lo
	s_delay_alu instid0(VALU_DEP_2) | instskip(SKIP_1) | instid1(VALU_DEP_3)
	v_mul_lo_u32 v11, s25, v4
	v_mad_co_u64_u32 v[9:10], null, s24, v4, 0
	v_mul_lo_u32 v12, s24, v6
	s_delay_alu instid0(VALU_DEP_2) | instskip(NEXT) | instid1(VALU_DEP_2)
	v_sub_co_u32 v9, vcc_lo, v7, v9
	v_add3_u32 v10, v10, v12, v11
	s_delay_alu instid0(VALU_DEP_1) | instskip(SKIP_1) | instid1(VALU_DEP_1)
	v_sub_nc_u32_e32 v11, v8, v10
	s_wait_alu 0xfffd
	v_subrev_co_ci_u32_e64 v11, s2, s25, v11, vcc_lo
	v_add_co_u32 v12, s2, v4, 2
	s_wait_alu 0xf1ff
	v_add_co_ci_u32_e64 v13, s2, 0, v6, s2
	v_sub_co_u32 v14, s2, v9, s24
	v_sub_co_ci_u32_e32 v10, vcc_lo, v8, v10, vcc_lo
	s_wait_alu 0xf1ff
	v_subrev_co_ci_u32_e64 v11, s2, 0, v11, s2
	s_delay_alu instid0(VALU_DEP_3) | instskip(NEXT) | instid1(VALU_DEP_3)
	v_cmp_le_u32_e32 vcc_lo, s24, v14
	v_cmp_eq_u32_e64 s2, s25, v10
	s_wait_alu 0xfffd
	v_cndmask_b32_e64 v14, 0, -1, vcc_lo
	v_cmp_le_u32_e32 vcc_lo, s25, v11
	s_wait_alu 0xfffd
	v_cndmask_b32_e64 v15, 0, -1, vcc_lo
	v_cmp_le_u32_e32 vcc_lo, s24, v9
	;; [unrolled: 3-line block ×3, first 2 shown]
	s_wait_alu 0xfffd
	v_cndmask_b32_e64 v16, 0, -1, vcc_lo
	v_cmp_eq_u32_e32 vcc_lo, s25, v11
	s_wait_alu 0xf1ff
	s_delay_alu instid0(VALU_DEP_2)
	v_cndmask_b32_e64 v9, v16, v9, s2
	s_wait_alu 0xfffd
	v_cndmask_b32_e32 v11, v15, v14, vcc_lo
	v_add_co_u32 v14, vcc_lo, v4, 1
	s_wait_alu 0xfffd
	v_add_co_ci_u32_e32 v15, vcc_lo, 0, v6, vcc_lo
	s_delay_alu instid0(VALU_DEP_3) | instskip(SKIP_1) | instid1(VALU_DEP_2)
	v_cmp_ne_u32_e32 vcc_lo, 0, v11
	s_wait_alu 0xfffd
	v_dual_cndmask_b32 v10, v15, v13 :: v_dual_cndmask_b32 v11, v14, v12
	v_cmp_ne_u32_e32 vcc_lo, 0, v9
	s_wait_alu 0xfffd
	s_delay_alu instid0(VALU_DEP_2)
	v_dual_cndmask_b32 v85, v6, v10 :: v_dual_cndmask_b32 v84, v4, v11
.LBB0_4:                                ;   in Loop: Header=BB0_2 Depth=1
	s_wait_alu 0xfffe
	s_and_not1_saveexec_b32 s2, s26
	s_cbranch_execz .LBB0_6
; %bb.5:                                ;   in Loop: Header=BB0_2 Depth=1
	v_cvt_f32_u32_e32 v4, s24
	s_sub_co_i32 s26, 0, s24
	v_mov_b32_e32 v85, v5
	s_delay_alu instid0(VALU_DEP_2) | instskip(NEXT) | instid1(TRANS32_DEP_1)
	v_rcp_iflag_f32_e32 v4, v4
	v_mul_f32_e32 v4, 0x4f7ffffe, v4
	s_delay_alu instid0(VALU_DEP_1) | instskip(SKIP_1) | instid1(VALU_DEP_1)
	v_cvt_u32_f32_e32 v4, v4
	s_wait_alu 0xfffe
	v_mul_lo_u32 v6, s26, v4
	s_delay_alu instid0(VALU_DEP_1) | instskip(NEXT) | instid1(VALU_DEP_1)
	v_mul_hi_u32 v6, v4, v6
	v_add_nc_u32_e32 v4, v4, v6
	s_delay_alu instid0(VALU_DEP_1) | instskip(NEXT) | instid1(VALU_DEP_1)
	v_mul_hi_u32 v4, v7, v4
	v_mul_lo_u32 v6, v4, s24
	s_delay_alu instid0(VALU_DEP_1) | instskip(NEXT) | instid1(VALU_DEP_1)
	v_sub_nc_u32_e32 v6, v7, v6
	v_subrev_nc_u32_e32 v10, s24, v6
	v_cmp_le_u32_e32 vcc_lo, s24, v6
	s_wait_alu 0xfffd
	s_delay_alu instid0(VALU_DEP_2) | instskip(NEXT) | instid1(VALU_DEP_1)
	v_dual_cndmask_b32 v6, v6, v10 :: v_dual_add_nc_u32 v9, 1, v4
	v_cndmask_b32_e32 v4, v4, v9, vcc_lo
	s_delay_alu instid0(VALU_DEP_2) | instskip(NEXT) | instid1(VALU_DEP_2)
	v_cmp_le_u32_e32 vcc_lo, s24, v6
	v_add_nc_u32_e32 v9, 1, v4
	s_wait_alu 0xfffd
	s_delay_alu instid0(VALU_DEP_1)
	v_cndmask_b32_e32 v84, v4, v9, vcc_lo
.LBB0_6:                                ;   in Loop: Header=BB0_2 Depth=1
	s_wait_alu 0xfffe
	s_or_b32 exec_lo, exec_lo, s2
	v_mul_lo_u32 v4, v85, s24
	s_delay_alu instid0(VALU_DEP_2)
	v_mul_lo_u32 v6, v84, s25
	s_load_b64 s[26:27], s[18:19], 0x0
	v_mad_co_u64_u32 v[9:10], null, v84, s24, 0
	s_load_b64 s[24:25], s[16:17], 0x0
	s_add_nc_u64 s[20:21], s[20:21], 1
	s_add_nc_u64 s[16:17], s[16:17], 8
	s_wait_alu 0xfffe
	v_cmp_ge_u64_e64 s2, s[20:21], s[10:11]
	s_add_nc_u64 s[18:19], s[18:19], 8
	s_add_nc_u64 s[22:23], s[22:23], 8
	v_add3_u32 v4, v10, v6, v4
	v_sub_co_u32 v6, vcc_lo, v7, v9
	s_wait_alu 0xfffd
	s_delay_alu instid0(VALU_DEP_2) | instskip(SKIP_2) | instid1(VALU_DEP_1)
	v_sub_co_ci_u32_e32 v4, vcc_lo, v8, v4, vcc_lo
	s_and_b32 vcc_lo, exec_lo, s2
	s_wait_kmcnt 0x0
	v_mul_lo_u32 v7, s26, v4
	v_mul_lo_u32 v8, s27, v6
	v_mad_co_u64_u32 v[1:2], null, s26, v6, v[1:2]
	v_mul_lo_u32 v4, s24, v4
	v_mul_lo_u32 v9, s25, v6
	v_mad_co_u64_u32 v[80:81], null, s24, v6, v[80:81]
	s_delay_alu instid0(VALU_DEP_4) | instskip(NEXT) | instid1(VALU_DEP_2)
	v_add3_u32 v2, v8, v2, v7
	v_add3_u32 v81, v9, v81, v4
	s_wait_alu 0xfffe
	s_cbranch_vccnz .LBB0_8
; %bb.7:                                ;   in Loop: Header=BB0_2 Depth=1
	v_dual_mov_b32 v7, v84 :: v_dual_mov_b32 v8, v85
	s_branch .LBB0_2
.LBB0_8:
	s_load_b64 s[0:1], s[0:1], 0x28
	v_mul_hi_u32 v4, 0xaaaaaaab, v3
                                        ; implicit-def: $vgpr82
	s_delay_alu instid0(VALU_DEP_1) | instskip(NEXT) | instid1(VALU_DEP_1)
	v_lshrrev_b32_e32 v4, 1, v4
	v_lshl_add_u32 v5, v4, 1, v4
	v_mul_hi_u32 v4, 0x3030304, v0
	s_delay_alu instid0(VALU_DEP_2) | instskip(SKIP_3) | instid1(VALU_DEP_1)
	v_sub_nc_u32_e32 v3, v3, v5
	s_wait_kmcnt 0x0
	v_cmp_gt_u64_e32 vcc_lo, s[0:1], v[84:85]
	v_cmp_le_u64_e64 s0, s[0:1], v[84:85]
	s_and_saveexec_b32 s1, s0
	s_wait_alu 0xfffe
	s_xor_b32 s0, exec_lo, s1
; %bb.9:
	v_mul_u32_u24_e32 v1, 0x55, v4
                                        ; implicit-def: $vgpr4
	s_delay_alu instid0(VALU_DEP_1)
	v_sub_nc_u32_e32 v82, v0, v1
                                        ; implicit-def: $vgpr0
                                        ; implicit-def: $vgpr1_vgpr2
; %bb.10:
	s_wait_alu 0xfffe
	s_or_saveexec_b32 s1, s0
	v_mul_u32_u24_e32 v3, 0x551, v3
	s_delay_alu instid0(VALU_DEP_1)
	v_lshlrev_b32_e32 v213, 4, v3
	s_wait_alu 0xfffe
	s_xor_b32 exec_lo, exec_lo, s1
	s_cbranch_execz .LBB0_12
; %bb.11:
	s_lshl_b64 s[2:3], s[10:11], 3
	v_lshlrev_b64_e32 v[1:2], 4, v[1:2]
	s_wait_alu 0xfffe
	s_add_nc_u64 s[2:3], s[12:13], s[2:3]
	s_load_b64 s[2:3], s[2:3], 0x0
	s_wait_kmcnt 0x0
	v_mul_lo_u32 v3, s3, v84
	v_mul_lo_u32 v7, s2, v85
	v_mad_co_u64_u32 v[5:6], null, s2, v84, 0
	s_delay_alu instid0(VALU_DEP_1) | instskip(SKIP_1) | instid1(VALU_DEP_2)
	v_add3_u32 v6, v6, v7, v3
	v_mul_u32_u24_e32 v7, 0x55, v4
	v_lshlrev_b64_e32 v[3:4], 4, v[5:6]
	s_delay_alu instid0(VALU_DEP_2) | instskip(NEXT) | instid1(VALU_DEP_1)
	v_sub_nc_u32_e32 v82, v0, v7
	v_lshlrev_b32_e32 v64, 4, v82
	s_delay_alu instid0(VALU_DEP_3) | instskip(SKIP_1) | instid1(VALU_DEP_4)
	v_add_co_u32 v0, s0, s4, v3
	s_wait_alu 0xf1ff
	v_add_co_ci_u32_e64 v3, s0, s5, v4, s0
	s_delay_alu instid0(VALU_DEP_2) | instskip(SKIP_1) | instid1(VALU_DEP_2)
	v_add_co_u32 v0, s0, v0, v1
	s_wait_alu 0xf1ff
	v_add_co_ci_u32_e64 v1, s0, v3, v2, s0
	s_delay_alu instid0(VALU_DEP_2) | instskip(SKIP_1) | instid1(VALU_DEP_2)
	v_add_co_u32 v60, s0, v0, v64
	s_wait_alu 0xf1ff
	v_add_co_ci_u32_e64 v61, s0, 0, v1, s0
	s_clause 0xf
	global_load_b128 v[0:3], v[60:61], off
	global_load_b128 v[4:7], v[60:61], off offset:1360
	global_load_b128 v[8:11], v[60:61], off offset:2720
	;; [unrolled: 1-line block ×15, first 2 shown]
	v_add3_u32 v64, 0, v213, v64
	s_wait_loadcnt 0xf
	ds_store_b128 v64, v[0:3]
	s_wait_loadcnt 0xe
	ds_store_b128 v64, v[4:7] offset:1360
	s_wait_loadcnt 0xd
	ds_store_b128 v64, v[8:11] offset:2720
	;; [unrolled: 2-line block ×15, first 2 shown]
.LBB0_12:
	s_or_b32 exec_lo, exec_lo, s1
	v_lshlrev_b32_e32 v83, 4, v82
	global_wb scope:SCOPE_SE
	s_wait_dscnt 0x0
	s_barrier_signal -1
	s_barrier_wait -1
	global_inv scope:SCOPE_SE
	v_add3_u32 v212, 0, v83, v213
	v_add_nc_u32_e32 v210, 0, v213
	s_mov_b32 s16, 0x5d8e7cdc
	s_mov_b32 s2, 0x370991
	;; [unrolled: 1-line block ×3, first 2 shown]
	ds_load_b128 v[8:11], v212 offset:20480
	ds_load_b128 v[28:31], v212 offset:1280
	v_add_nc_u32_e32 v211, v210, v83
	s_mov_b32 s4, 0x75d4884
	s_mov_b32 s17, 0xbfd71e95
	;; [unrolled: 1-line block ×4, first 2 shown]
	ds_load_b128 v[12:15], v211
	ds_load_b128 v[16:19], v212 offset:19200
	ds_load_b128 v[32:35], v212 offset:2560
	s_mov_b32 s5, 0x3fe7a5f6
	ds_load_b128 v[36:39], v212 offset:3840
	ds_load_b128 v[20:23], v212 offset:17920
	s_mov_b32 s18, 0x3259b75e
	s_mov_b32 s38, 0xeb564b22
	;; [unrolled: 1-line block ×4, first 2 shown]
	ds_load_b128 v[24:27], v212 offset:16640
	ds_load_b128 v[48:51], v212 offset:5120
	s_mov_b32 s34, 0x7c9e640b
	s_mov_b32 s22, 0x2b2883cd
	s_mov_b32 s20, 0x6ed5f1bb
	s_mov_b32 s30, 0x6c9a05f6
	s_mov_b32 s35, 0xbfeca52d
	s_wait_dscnt 0x7
	v_add_f64_e64 v[144:145], v[30:31], -v[10:11]
	v_add_f64_e32 v[148:149], v[30:31], v[10:11]
	v_add_f64_e32 v[142:143], v[28:29], v[8:9]
	v_add_f64_e64 v[152:153], v[28:29], -v[8:9]
	s_mov_b32 s23, 0x3fdc86fa
	s_mov_b32 s21, 0xbfe348c8
	;; [unrolled: 1-line block ×3, first 2 shown]
	s_wait_dscnt 0x4
	v_add_f64_e64 v[78:79], v[34:35], -v[18:19]
	v_add_f64_e32 v[76:77], v[34:35], v[18:19]
	s_wait_dscnt 0x2
	v_add_f64_e64 v[110:111], v[38:39], -v[22:23]
	v_add_f64_e32 v[86:87], v[38:39], v[22:23]
	v_add_f64_e32 v[88:89], v[32:33], v[16:17]
	v_add_f64_e64 v[114:115], v[32:33], -v[16:17]
	v_add_f64_e32 v[90:91], v[36:37], v[20:21]
	v_add_f64_e64 v[118:119], v[36:37], -v[20:21]
	s_wait_dscnt 0x0
	v_add_f64_e64 v[116:117], v[50:51], -v[26:27]
	v_add_f64_e32 v[92:93], v[50:51], v[26:27]
	ds_load_b128 v[52:55], v212 offset:6400
	ds_load_b128 v[40:43], v212 offset:15360
	s_mov_b32 s24, 0x7faef3
	s_mov_b32 s25, 0xbfef7484
	;; [unrolled: 1-line block ×4, first 2 shown]
	v_add_f64_e32 v[94:95], v[48:49], v[24:25]
	v_add_f64_e64 v[122:123], v[48:49], -v[24:25]
	s_mov_b32 s28, 0xc61f0d01
	s_mov_b32 s50, 0x923c349f
	;; [unrolled: 1-line block ×13, first 2 shown]
	s_wait_dscnt 0x0
	v_add_f64_e64 v[120:121], v[54:55], -v[42:43]
	v_mul_f64_e32 v[146:147], s[16:17], v[144:145]
	s_wait_alu 0xfffe
	v_mul_f64_e32 v[154:155], s[2:3], v[148:149]
	v_mul_f64_e32 v[206:207], s[12:13], v[144:145]
	;; [unrolled: 1-line block ×3, first 2 shown]
	v_add_f64_e32 v[96:97], v[54:55], v[42:43]
	v_add_f64_e32 v[98:99], v[52:53], v[40:41]
	v_add_f64_e64 v[126:127], v[52:53], -v[40:41]
	v_mul_f64_e32 v[158:159], s[12:13], v[78:79]
	v_mul_f64_e32 v[160:161], s[4:5], v[76:77]
	v_mul_f64_e32 v[138:139], s[38:39], v[78:79]
	v_mul_f64_e32 v[140:141], s[18:19], v[76:77]
	v_mul_f64_e32 v[166:167], s[34:35], v[110:111]
	v_mul_f64_e32 v[168:169], s[22:23], v[86:87]
	v_mul_f64_e32 v[150:151], s[30:31], v[110:111]
	v_mul_f64_e32 v[156:157], s[20:21], v[86:87]
	v_mul_f64_e32 v[176:177], s[38:39], v[116:117]
	v_mul_f64_e32 v[180:181], s[18:19], v[92:93]
	v_mul_f64_e32 v[162:163], s[46:47], v[116:117]
	v_mul_f64_e32 v[164:165], s[24:25], v[92:93]
	s_mov_b32 s36, s34
	s_mov_b32 s49, 0x3fd71e95
	;; [unrolled: 1-line block ×3, first 2 shown]
	s_lshl_b64 s[10:11], s[10:11], 3
	s_mov_b32 s33, exec_lo
	v_mul_f64_e32 v[184:185], s[50:51], v[120:121]
	v_fma_f64 v[0:1], v[142:143], s[2:3], -v[146:147]
	v_fma_f64 v[2:3], v[152:153], s[16:17], v[154:155]
	v_fma_f64 v[4:5], v[142:143], s[4:5], -v[206:207]
	v_fma_f64 v[6:7], v[152:153], s[12:13], v[208:209]
	v_mul_f64_e32 v[186:187], s[28:29], v[96:97]
	v_mul_f64_e32 v[170:171], s[44:45], v[120:121]
	;; [unrolled: 1-line block ×3, first 2 shown]
	v_fma_f64 v[44:45], v[88:89], s[4:5], -v[158:159]
	v_fma_f64 v[46:47], v[114:115], s[12:13], v[160:161]
	v_fma_f64 v[56:57], v[88:89], s[18:19], -v[138:139]
	v_fma_f64 v[58:59], v[114:115], s[38:39], v[140:141]
	v_fma_f64 v[68:69], v[90:91], s[22:23], -v[166:167]
	v_fma_f64 v[70:71], v[118:119], s[34:35], v[168:169]
	v_fma_f64 v[72:73], v[90:91], s[20:21], -v[150:151]
	v_fma_f64 v[74:75], v[118:119], s[30:31], v[156:157]
	v_fma_f64 v[106:107], v[94:95], s[18:19], -v[176:177]
	v_fma_f64 v[108:109], v[122:123], s[38:39], v[180:181]
	v_fma_f64 v[112:113], v[94:95], s[24:25], -v[162:163]
	v_fma_f64 v[130:131], v[122:123], s[46:47], v[164:165]
	v_fma_f64 v[134:135], v[98:99], s[28:29], -v[184:185]
	v_add_f64_e32 v[0:1], v[12:13], v[0:1]
	v_add_f64_e32 v[2:3], v[14:15], v[2:3]
	v_add_f64_e32 v[4:5], v[12:13], v[4:5]
	v_add_f64_e32 v[6:7], v[14:15], v[6:7]
	v_fma_f64 v[190:191], v[126:127], s[50:51], v[186:187]
	v_fma_f64 v[192:193], v[98:99], s[26:27], -v[170:171]
	v_fma_f64 v[202:203], v[126:127], s[44:45], v[172:173]
	v_add_f64_e32 v[0:1], v[44:45], v[0:1]
	v_add_f64_e32 v[2:3], v[46:47], v[2:3]
	;; [unrolled: 1-line block ×4, first 2 shown]
	ds_load_b128 v[44:47], v212 offset:14080
	ds_load_b128 v[60:63], v212 offset:7680
	;; [unrolled: 1-line block ×4, first 2 shown]
	s_wait_dscnt 0x2
	v_add_f64_e64 v[124:125], v[62:63], -v[46:47]
	v_add_f64_e32 v[100:101], v[62:63], v[46:47]
	v_add_f64_e32 v[102:103], v[60:61], v[44:45]
	v_add_f64_e64 v[128:129], v[60:61], -v[44:45]
	s_wait_dscnt 0x0
	v_add_f64_e64 v[132:133], v[66:67], -v[58:59]
	v_add_f64_e32 v[104:105], v[66:67], v[58:59]
	v_add_f64_e64 v[136:137], v[64:65], -v[56:57]
	v_add_f64_e32 v[0:1], v[68:69], v[0:1]
	v_add_f64_e32 v[2:3], v[70:71], v[2:3]
	;; [unrolled: 1-line block ×4, first 2 shown]
	ds_load_b128 v[72:75], v212 offset:10240
	ds_load_b128 v[68:71], v212 offset:11520
	global_wb scope:SCOPE_SE
	s_wait_dscnt 0x0
	s_barrier_signal -1
	s_barrier_wait -1
	global_inv scope:SCOPE_SE
	v_mul_f64_e32 v[194:195], s[30:31], v[124:125]
	v_mul_f64_e32 v[196:197], s[20:21], v[100:101]
	;; [unrolled: 1-line block ×8, first 2 shown]
	v_add_f64_e32 v[0:1], v[106:107], v[0:1]
	v_add_f64_e32 v[2:3], v[108:109], v[2:3]
	;; [unrolled: 1-line block ×5, first 2 shown]
	v_add_f64_e64 v[130:131], v[74:75], -v[70:71]
	v_add_f64_e32 v[108:109], v[74:75], v[70:71]
	v_add_f64_e32 v[112:113], v[72:73], v[68:69]
	v_fma_f64 v[214:215], v[102:103], s[20:21], -v[194:195]
	v_fma_f64 v[216:217], v[128:129], s[30:31], v[196:197]
	v_fma_f64 v[218:219], v[102:103], s[28:29], -v[174:175]
	v_fma_f64 v[220:221], v[128:129], s[40:41], v[178:179]
	v_fma_f64 v[224:225], v[136:137], s[42:43], v[200:201]
	;; [unrolled: 1-line block ×3, first 2 shown]
	v_add_f64_e32 v[0:1], v[134:135], v[0:1]
	v_add_f64_e32 v[2:3], v[190:191], v[2:3]
	;; [unrolled: 1-line block ×4, first 2 shown]
	v_add_f64_e64 v[134:135], v[72:73], -v[68:69]
	v_mul_f64_e32 v[202:203], s[46:47], v[130:131]
	v_mul_f64_e32 v[204:205], s[24:25], v[108:109]
	v_mul_f64_e32 v[190:191], s[48:49], v[130:131]
	v_mul_f64_e32 v[192:193], s[2:3], v[108:109]
	v_fma_f64 v[222:223], v[106:107], s[26:27], -v[198:199]
	v_fma_f64 v[226:227], v[106:107], s[22:23], -v[182:183]
	v_add_f64_e32 v[0:1], v[214:215], v[0:1]
	v_add_f64_e32 v[2:3], v[216:217], v[2:3]
	;; [unrolled: 1-line block ×4, first 2 shown]
	v_fma_f64 v[214:215], v[112:113], s[24:25], -v[202:203]
	v_fma_f64 v[216:217], v[134:135], s[46:47], v[204:205]
	v_fma_f64 v[218:219], v[112:113], s[2:3], -v[190:191]
	v_fma_f64 v[220:221], v[134:135], s[48:49], v[192:193]
	v_add_f64_e32 v[0:1], v[222:223], v[0:1]
	v_add_f64_e32 v[2:3], v[224:225], v[2:3]
	;; [unrolled: 1-line block ×4, first 2 shown]
	s_delay_alu instid0(VALU_DEP_4) | instskip(NEXT) | instid1(VALU_DEP_4)
	v_add_f64_e32 v[4:5], v[214:215], v[0:1]
	v_add_f64_e32 v[6:7], v[216:217], v[2:3]
	s_delay_alu instid0(VALU_DEP_4) | instskip(NEXT) | instid1(VALU_DEP_4)
	v_add_f64_e32 v[0:1], v[218:219], v[222:223]
	v_add_f64_e32 v[2:3], v[220:221], v[224:225]
	v_cmpx_gt_u32_e32 0x50, v82
	s_cbranch_execz .LBB0_14
; %bb.13:
	v_add_f64_e32 v[28:29], v[12:13], v[28:29]
	v_add_f64_e32 v[30:31], v[14:15], v[30:31]
	s_mov_b32 s53, 0x3fe58eea
	s_mov_b32 s52, s12
	;; [unrolled: 1-line block ×5, first 2 shown]
	s_wait_alu 0xfffe
	v_mul_f64_e32 v[216:217], s[0:1], v[134:135]
	v_mul_f64_e32 v[218:219], s[0:1], v[130:131]
	s_mov_b32 s54, s30
	v_mul_f64_e32 v[220:221], s[30:31], v[134:135]
	v_mul_f64_e32 v[222:223], s[30:31], v[130:131]
	v_add_f64_e32 v[28:29], v[28:29], v[32:33]
	v_add_f64_e32 v[30:31], v[30:31], v[34:35]
	v_mul_f64_e32 v[32:33], s[38:39], v[152:153]
	s_delay_alu instid0(VALU_DEP_3) | instskip(NEXT) | instid1(VALU_DEP_3)
	v_add_f64_e32 v[28:29], v[28:29], v[36:37]
	v_add_f64_e32 v[30:31], v[30:31], v[38:39]
	v_mul_f64_e32 v[36:37], s[34:35], v[152:153]
	s_delay_alu instid0(VALU_DEP_4)
	v_fma_f64 v[34:35], v[148:149], s[18:19], v[32:33]
	v_fma_f64 v[32:33], v[148:149], s[18:19], -v[32:33]
	v_add_f64_e32 v[28:29], v[28:29], v[48:49]
	v_add_f64_e32 v[30:31], v[30:31], v[50:51]
	v_mul_f64_e32 v[48:49], s[42:43], v[144:145]
	v_mul_f64_e32 v[50:51], s[30:31], v[144:145]
	v_fma_f64 v[38:39], v[148:149], s[22:23], v[36:37]
	v_fma_f64 v[36:37], v[148:149], s[22:23], -v[36:37]
	v_add_f64_e32 v[28:29], v[28:29], v[52:53]
	v_add_f64_e32 v[30:31], v[30:31], v[54:55]
	v_mul_f64_e32 v[52:53], s[50:51], v[144:145]
	v_mul_f64_e32 v[54:55], s[38:39], v[144:145]
	v_add_f64_e32 v[36:37], v[14:15], v[36:37]
	v_add_f64_e32 v[28:29], v[28:29], v[60:61]
	;; [unrolled: 1-line block ×3, first 2 shown]
	v_fma_f64 v[60:61], v[142:143], s[26:27], -v[48:49]
	v_fma_f64 v[48:49], v[142:143], s[26:27], v[48:49]
	v_fma_f64 v[62:63], v[142:143], s[20:21], -v[50:51]
	v_fma_f64 v[50:51], v[142:143], s[20:21], v[50:51]
	v_add_f64_e32 v[28:29], v[28:29], v[64:65]
	v_add_f64_e32 v[30:31], v[30:31], v[66:67]
	v_fma_f64 v[64:65], v[142:143], s[28:29], -v[52:53]
	v_fma_f64 v[52:53], v[142:143], s[28:29], v[52:53]
	v_fma_f64 v[66:67], v[142:143], s[18:19], -v[54:55]
	v_fma_f64 v[54:55], v[142:143], s[18:19], v[54:55]
	v_add_f64_e32 v[60:61], v[12:13], v[60:61]
	v_add_f64_e32 v[48:49], v[12:13], v[48:49]
	;; [unrolled: 1-line block ×12, first 2 shown]
	v_mul_f64_e32 v[70:71], s[2:3], v[142:143]
	s_delay_alu instid0(VALU_DEP_3) | instskip(NEXT) | instid1(VALU_DEP_3)
	v_add_f64_e32 v[28:29], v[28:29], v[56:57]
	v_add_f64_e32 v[30:31], v[30:31], v[58:59]
	v_mul_f64_e32 v[56:57], s[34:35], v[144:145]
	s_delay_alu instid0(VALU_DEP_4) | instskip(NEXT) | instid1(VALU_DEP_4)
	v_add_f64_e32 v[70:71], v[70:71], v[146:147]
	v_add_f64_e32 v[28:29], v[28:29], v[44:45]
	s_delay_alu instid0(VALU_DEP_4)
	v_add_f64_e32 v[30:31], v[30:31], v[46:47]
	v_mul_f64_e32 v[46:47], s[46:47], v[144:145]
	v_mul_f64_e32 v[44:45], s[16:17], v[152:153]
	v_fma_f64 v[68:69], v[142:143], s[22:23], -v[56:57]
	v_fma_f64 v[56:57], v[142:143], s[22:23], v[56:57]
	v_add_f64_e32 v[28:29], v[28:29], v[40:41]
	v_add_f64_e32 v[30:31], v[30:31], v[42:43]
	v_mul_f64_e32 v[42:43], s[4:5], v[142:143]
	v_fma_f64 v[58:59], v[142:143], s[24:25], -v[46:47]
	v_fma_f64 v[46:47], v[142:143], s[24:25], v[46:47]
	v_mul_f64_e32 v[40:41], s[12:13], v[152:153]
	v_add_f64_e64 v[44:45], v[154:155], -v[44:45]
	v_add_f64_e32 v[154:155], v[14:15], v[38:39]
	v_add_f64_e32 v[68:69], v[12:13], v[68:69]
	;; [unrolled: 1-line block ×5, first 2 shown]
	v_mul_f64_e32 v[28:29], s[50:51], v[152:153]
	v_add_f64_e32 v[42:43], v[42:43], v[206:207]
	v_add_f64_e32 v[58:59], v[12:13], v[58:59]
	;; [unrolled: 1-line block ×3, first 2 shown]
	v_add_f64_e64 v[40:41], v[208:209], -v[40:41]
	v_add_f64_e32 v[20:21], v[24:25], v[20:21]
	v_add_f64_e32 v[22:23], v[26:27], v[22:23]
	v_mul_f64_e32 v[24:25], s[30:31], v[152:153]
	v_fma_f64 v[30:31], v[148:149], s[28:29], v[28:29]
	v_fma_f64 v[28:29], v[148:149], s[28:29], -v[28:29]
	v_add_f64_e32 v[16:17], v[20:21], v[16:17]
	v_mul_f64_e32 v[20:21], s[42:43], v[152:153]
	v_add_f64_e32 v[18:19], v[22:23], v[18:19]
	v_fma_f64 v[26:27], v[148:149], s[20:21], v[24:25]
	v_fma_f64 v[24:25], v[148:149], s[20:21], -v[24:25]
	v_add_f64_e32 v[144:145], v[14:15], v[30:31]
	v_add_f64_e32 v[30:31], v[12:13], v[70:71]
	;; [unrolled: 1-line block ×5, first 2 shown]
	v_mul_f64_e32 v[16:17], s[46:47], v[152:153]
	v_fma_f64 v[22:23], v[148:149], s[26:27], v[20:21]
	v_fma_f64 v[20:21], v[148:149], s[26:27], -v[20:21]
	v_add_f64_e32 v[10:11], v[18:19], v[10:11]
	v_add_f64_e32 v[142:143], v[14:15], v[24:25]
	v_mul_f64_e32 v[24:25], s[42:43], v[118:119]
	v_add_f64_e32 v[74:75], v[14:15], v[26:27]
	v_add_f64_e32 v[152:153], v[14:15], v[32:33]
	v_add_f64_e32 v[32:33], v[14:15], v[40:41]
	v_fma_f64 v[18:19], v[148:149], s[24:25], v[16:17]
	v_fma_f64 v[16:17], v[148:149], s[24:25], -v[16:17]
	v_add_f64_e32 v[72:73], v[14:15], v[20:21]
	v_mul_f64_e32 v[20:21], s[48:49], v[114:115]
	v_add_f64_e32 v[148:149], v[14:15], v[34:35]
	v_add_f64_e32 v[34:35], v[12:13], v[42:43]
	v_fma_f64 v[26:27], v[86:87], s[26:27], v[24:25]
	v_add_f64_e32 v[22:23], v[14:15], v[22:23]
	v_add_f64_e32 v[18:19], v[14:15], v[18:19]
	;; [unrolled: 1-line block ×3, first 2 shown]
	v_fma_f64 v[12:13], v[76:77], s[2:3], v[20:21]
	v_fma_f64 v[20:21], v[76:77], s[2:3], -v[20:21]
	s_delay_alu instid0(VALU_DEP_2) | instskip(SKIP_1) | instid1(VALU_DEP_3)
	v_add_f64_e32 v[12:13], v[12:13], v[18:19]
	v_mul_f64_e32 v[18:19], s[48:49], v[78:79]
	v_add_f64_e32 v[16:17], v[20:21], v[16:17]
	v_fma_f64 v[20:21], v[86:87], s[26:27], -v[24:25]
	v_fma_f64 v[24:25], v[112:113], s[18:19], v[218:219]
	v_add_f64_e32 v[12:13], v[26:27], v[12:13]
	v_fma_f64 v[14:15], v[88:89], s[2:3], -v[18:19]
	v_mul_f64_e32 v[26:27], s[42:43], v[110:111]
	v_fma_f64 v[18:19], v[88:89], s[2:3], v[18:19]
	v_add_f64_e32 v[16:17], v[20:21], v[16:17]
	s_delay_alu instid0(VALU_DEP_4) | instskip(NEXT) | instid1(VALU_DEP_4)
	v_add_f64_e32 v[14:15], v[14:15], v[58:59]
	v_fma_f64 v[40:41], v[90:91], s[26:27], -v[26:27]
	s_delay_alu instid0(VALU_DEP_4) | instskip(SKIP_2) | instid1(VALU_DEP_4)
	v_add_f64_e32 v[18:19], v[18:19], v[46:47]
	v_fma_f64 v[20:21], v[90:91], s[26:27], v[26:27]
	v_mul_f64_e32 v[26:27], s[36:37], v[78:79]
	v_add_f64_e32 v[14:15], v[40:41], v[14:15]
	v_mul_f64_e32 v[40:41], s[52:53], v[122:123]
	s_delay_alu instid0(VALU_DEP_4) | instskip(NEXT) | instid1(VALU_DEP_2)
	v_add_f64_e32 v[18:19], v[20:21], v[18:19]
	v_fma_f64 v[42:43], v[92:93], s[4:5], v[40:41]
	v_fma_f64 v[20:21], v[92:93], s[4:5], -v[40:41]
	v_mul_f64_e32 v[40:41], s[38:39], v[118:119]
	s_delay_alu instid0(VALU_DEP_3) | instskip(SKIP_1) | instid1(VALU_DEP_4)
	v_add_f64_e32 v[12:13], v[42:43], v[12:13]
	v_mul_f64_e32 v[42:43], s[52:53], v[116:117]
	v_add_f64_e32 v[16:17], v[20:21], v[16:17]
	s_delay_alu instid0(VALU_DEP_2) | instskip(SKIP_3) | instid1(VALU_DEP_4)
	v_fma_f64 v[44:45], v[94:95], s[4:5], -v[42:43]
	v_fma_f64 v[20:21], v[94:95], s[4:5], v[42:43]
	v_fma_f64 v[42:43], v[86:87], s[18:19], v[40:41]
	v_fma_f64 v[40:41], v[86:87], s[18:19], -v[40:41]
	v_add_f64_e32 v[14:15], v[44:45], v[14:15]
	v_mul_f64_e32 v[44:45], s[30:31], v[126:127]
	v_add_f64_e32 v[18:19], v[20:21], v[18:19]
	s_delay_alu instid0(VALU_DEP_2) | instskip(SKIP_1) | instid1(VALU_DEP_2)
	v_fma_f64 v[56:57], v[96:97], s[20:21], v[44:45]
	v_fma_f64 v[20:21], v[96:97], s[20:21], -v[44:45]
	v_add_f64_e32 v[12:13], v[56:57], v[12:13]
	v_mul_f64_e32 v[56:57], s[30:31], v[120:121]
	s_delay_alu instid0(VALU_DEP_3) | instskip(NEXT) | instid1(VALU_DEP_2)
	v_add_f64_e32 v[16:17], v[20:21], v[16:17]
	v_fma_f64 v[58:59], v[98:99], s[20:21], -v[56:57]
	v_fma_f64 v[20:21], v[98:99], s[20:21], v[56:57]
	s_delay_alu instid0(VALU_DEP_2) | instskip(SKIP_1) | instid1(VALU_DEP_3)
	v_add_f64_e32 v[14:15], v[58:59], v[14:15]
	v_mul_f64_e32 v[58:59], s[36:37], v[128:129]
	v_add_f64_e32 v[18:19], v[20:21], v[18:19]
	s_delay_alu instid0(VALU_DEP_2) | instskip(SKIP_1) | instid1(VALU_DEP_2)
	v_fma_f64 v[70:71], v[100:101], s[22:23], v[58:59]
	v_fma_f64 v[20:21], v[100:101], s[22:23], -v[58:59]
	v_add_f64_e32 v[12:13], v[70:71], v[12:13]
	v_mul_f64_e32 v[70:71], s[36:37], v[124:125]
	s_delay_alu instid0(VALU_DEP_3) | instskip(NEXT) | instid1(VALU_DEP_2)
	v_add_f64_e32 v[16:17], v[20:21], v[16:17]
	v_fma_f64 v[206:207], v[102:103], s[22:23], -v[70:71]
	v_fma_f64 v[20:21], v[102:103], s[22:23], v[70:71]
	s_delay_alu instid0(VALU_DEP_2) | instskip(SKIP_1) | instid1(VALU_DEP_3)
	v_add_f64_e32 v[14:15], v[206:207], v[14:15]
	v_mul_f64_e32 v[206:207], s[50:51], v[136:137]
	v_add_f64_e32 v[18:19], v[20:21], v[18:19]
	s_delay_alu instid0(VALU_DEP_2) | instskip(SKIP_1) | instid1(VALU_DEP_2)
	v_fma_f64 v[208:209], v[104:105], s[28:29], v[206:207]
	v_fma_f64 v[20:21], v[104:105], s[28:29], -v[206:207]
	v_add_f64_e32 v[12:13], v[208:209], v[12:13]
	v_mul_f64_e32 v[208:209], s[50:51], v[132:133]
	s_delay_alu instid0(VALU_DEP_3) | instskip(NEXT) | instid1(VALU_DEP_2)
	v_add_f64_e32 v[16:17], v[20:21], v[16:17]
	v_fma_f64 v[20:21], v[106:107], s[28:29], v[208:209]
	v_fma_f64 v[214:215], v[106:107], s[28:29], -v[208:209]
	s_delay_alu instid0(VALU_DEP_2) | instskip(SKIP_1) | instid1(VALU_DEP_3)
	v_add_f64_e32 v[20:21], v[20:21], v[18:19]
	v_fma_f64 v[18:19], v[108:109], s[18:19], -v[216:217]
	v_add_f64_e32 v[214:215], v[214:215], v[14:15]
	v_fma_f64 v[14:15], v[108:109], s[18:19], v[216:217]
	v_mul_f64_e32 v[216:217], s[50:51], v[134:135]
	s_delay_alu instid0(VALU_DEP_4)
	v_add_f64_e32 v[18:19], v[18:19], v[16:17]
	v_add_f64_e32 v[16:17], v[24:25], v[20:21]
	v_mul_f64_e32 v[24:25], s[36:37], v[114:115]
	v_add_f64_e32 v[14:15], v[14:15], v[12:13]
	v_fma_f64 v[12:13], v[112:113], s[18:19], -v[218:219]
	v_mul_f64_e32 v[218:219], s[50:51], v[130:131]
	s_delay_alu instid0(VALU_DEP_4) | instskip(SKIP_1) | instid1(VALU_DEP_4)
	v_fma_f64 v[20:21], v[76:77], s[22:23], v[24:25]
	v_fma_f64 v[24:25], v[76:77], s[22:23], -v[24:25]
	v_add_f64_e32 v[12:13], v[12:13], v[214:215]
	s_delay_alu instid0(VALU_DEP_3) | instskip(SKIP_1) | instid1(VALU_DEP_4)
	v_add_f64_e32 v[20:21], v[20:21], v[22:23]
	v_fma_f64 v[22:23], v[88:89], s[22:23], -v[26:27]
	v_add_f64_e32 v[24:25], v[24:25], v[72:73]
	v_fma_f64 v[26:27], v[88:89], s[22:23], v[26:27]
	v_mul_f64_e32 v[72:73], s[30:31], v[78:79]
	v_add_f64_e32 v[20:21], v[42:43], v[20:21]
	v_mul_f64_e32 v[42:43], s[38:39], v[110:111]
	v_add_f64_e32 v[22:23], v[22:23], v[60:61]
	v_add_f64_e32 v[26:27], v[26:27], v[48:49]
	;; [unrolled: 1-line block ×3, first 2 shown]
	v_mul_f64_e32 v[48:49], s[22:23], v[90:91]
	v_fma_f64 v[44:45], v[90:91], s[18:19], -v[42:43]
	v_fma_f64 v[40:41], v[90:91], s[18:19], v[42:43]
	v_fma_f64 v[42:43], v[112:113], s[28:29], v[218:219]
	s_delay_alu instid0(VALU_DEP_4) | instskip(SKIP_4) | instid1(VALU_DEP_2)
	v_add_f64_e32 v[48:49], v[48:49], v[166:167]
	v_mul_f64_e32 v[166:167], s[52:53], v[120:121]
	v_add_f64_e32 v[22:23], v[44:45], v[22:23]
	v_mul_f64_e32 v[44:45], s[54:55], v[122:123]
	v_add_f64_e32 v[26:27], v[40:41], v[26:27]
	v_fma_f64 v[46:47], v[92:93], s[20:21], v[44:45]
	v_fma_f64 v[40:41], v[92:93], s[20:21], -v[44:45]
	v_mul_f64_e32 v[44:45], s[12:13], v[114:115]
	s_delay_alu instid0(VALU_DEP_3) | instskip(SKIP_1) | instid1(VALU_DEP_4)
	v_add_f64_e32 v[20:21], v[46:47], v[20:21]
	v_mul_f64_e32 v[46:47], s[54:55], v[116:117]
	v_add_f64_e32 v[24:25], v[40:41], v[24:25]
	s_delay_alu instid0(VALU_DEP_4) | instskip(SKIP_1) | instid1(VALU_DEP_4)
	v_add_f64_e64 v[44:45], v[160:161], -v[44:45]
	v_mul_f64_e32 v[160:161], s[40:41], v[122:123]
	v_fma_f64 v[56:57], v[94:95], s[20:21], -v[46:47]
	v_fma_f64 v[40:41], v[94:95], s[20:21], v[46:47]
	v_mul_f64_e32 v[46:47], s[18:19], v[94:95]
	v_add_f64_e32 v[28:29], v[44:45], v[28:29]
	v_mul_f64_e32 v[44:45], s[20:21], v[102:103]
	v_add_f64_e32 v[22:23], v[56:57], v[22:23]
	;; [unrolled: 2-line block ×3, first 2 shown]
	v_add_f64_e32 v[46:47], v[46:47], v[176:177]
	v_add_f64_e32 v[44:45], v[44:45], v[194:195]
	v_mul_f64_e32 v[176:177], s[42:43], v[134:135]
	v_mul_f64_e32 v[194:195], s[54:55], v[136:137]
	v_fma_f64 v[58:59], v[96:97], s[2:3], v[56:57]
	v_fma_f64 v[40:41], v[96:97], s[2:3], -v[56:57]
	v_mul_f64_e32 v[56:57], s[4:5], v[88:89]
	s_delay_alu instid0(VALU_DEP_3) | instskip(SKIP_1) | instid1(VALU_DEP_4)
	v_add_f64_e32 v[20:21], v[58:59], v[20:21]
	v_mul_f64_e32 v[58:59], s[16:17], v[120:121]
	v_add_f64_e32 v[24:25], v[40:41], v[24:25]
	s_delay_alu instid0(VALU_DEP_4) | instskip(NEXT) | instid1(VALU_DEP_3)
	v_add_f64_e32 v[56:57], v[56:57], v[158:159]
	v_fma_f64 v[60:61], v[98:99], s[2:3], -v[58:59]
	v_fma_f64 v[40:41], v[98:99], s[2:3], v[58:59]
	s_delay_alu instid0(VALU_DEP_3)
	v_add_f64_e32 v[30:31], v[56:57], v[30:31]
	v_mul_f64_e32 v[58:59], s[50:51], v[126:127]
	v_mul_f64_e32 v[56:57], s[18:19], v[88:89]
	v_add_f64_e32 v[22:23], v[60:61], v[22:23]
	v_mul_f64_e32 v[60:61], s[46:47], v[128:129]
	v_add_f64_e32 v[26:27], v[40:41], v[26:27]
	v_add_f64_e32 v[30:31], v[48:49], v[30:31]
	v_add_f64_e64 v[58:59], v[186:187], -v[58:59]
	v_mul_f64_e32 v[48:49], s[20:21], v[90:91]
	v_add_f64_e32 v[56:57], v[56:57], v[138:139]
	v_mul_f64_e32 v[138:139], s[46:47], v[78:79]
	v_mul_f64_e32 v[186:187], s[34:35], v[126:127]
	v_fma_f64 v[70:71], v[100:101], s[24:25], v[60:61]
	v_fma_f64 v[40:41], v[100:101], s[24:25], -v[60:61]
	v_mul_f64_e32 v[60:61], s[28:29], v[98:99]
	v_add_f64_e32 v[30:31], v[46:47], v[30:31]
	v_mul_f64_e32 v[46:47], s[46:47], v[134:135]
	v_add_f64_e32 v[48:49], v[48:49], v[150:151]
	v_add_f64_e32 v[34:35], v[56:57], v[34:35]
	v_mul_f64_e32 v[56:57], s[46:47], v[136:137]
	v_mul_f64_e32 v[150:151], s[46:47], v[120:121]
	v_add_f64_e32 v[20:21], v[70:71], v[20:21]
	v_mul_f64_e32 v[70:71], s[46:47], v[124:125]
	v_add_f64_e32 v[24:25], v[40:41], v[24:25]
	v_add_f64_e32 v[60:61], v[60:61], v[184:185]
	v_add_f64_e64 v[46:47], v[204:205], -v[46:47]
	v_mul_f64_e32 v[184:185], s[48:49], v[116:117]
	v_add_f64_e32 v[34:35], v[48:49], v[34:35]
	v_mul_f64_e32 v[204:205], s[52:53], v[118:119]
	v_fma_f64 v[206:207], v[102:103], s[24:25], -v[70:71]
	v_fma_f64 v[40:41], v[102:103], s[24:25], v[70:71]
	v_mul_f64_e32 v[70:71], s[30:31], v[128:129]
	v_add_f64_e32 v[30:31], v[60:61], v[30:31]
	v_mul_f64_e32 v[60:61], s[26:27], v[98:99]
	v_fma_f64 v[48:49], v[86:87], s[4:5], -v[204:205]
	v_add_f64_e32 v[22:23], v[206:207], v[22:23]
	v_mul_f64_e32 v[206:207], s[52:53], v[136:137]
	v_add_f64_e32 v[26:27], v[40:41], v[26:27]
	v_add_f64_e64 v[70:71], v[196:197], -v[70:71]
	v_add_f64_e32 v[30:31], v[44:45], v[30:31]
	v_mul_f64_e32 v[44:45], s[24:25], v[112:113]
	v_add_f64_e32 v[60:61], v[60:61], v[170:171]
	v_mul_f64_e32 v[170:171], s[16:17], v[124:125]
	v_mul_f64_e32 v[196:197], s[54:55], v[132:133]
	v_fma_f64 v[208:209], v[104:105], s[4:5], v[206:207]
	v_fma_f64 v[40:41], v[104:105], s[4:5], -v[206:207]
	v_mul_f64_e32 v[206:207], s[52:53], v[110:111]
	v_add_f64_e32 v[44:45], v[44:45], v[202:203]
	v_mul_f64_e32 v[202:203], s[44:45], v[114:115]
	v_add_f64_e32 v[20:21], v[208:209], v[20:21]
	;; [unrolled: 2-line block ×3, first 2 shown]
	s_delay_alu instid0(VALU_DEP_2) | instskip(SKIP_2) | instid1(VALU_DEP_3)
	v_fma_f64 v[40:41], v[106:107], s[4:5], v[208:209]
	v_fma_f64 v[214:215], v[106:107], s[4:5], -v[208:209]
	v_mul_f64_e32 v[208:209], s[34:35], v[122:123]
	v_add_f64_e32 v[40:41], v[40:41], v[26:27]
	v_fma_f64 v[26:27], v[108:109], s[28:29], -v[216:217]
	s_delay_alu instid0(VALU_DEP_4) | instskip(SKIP_2) | instid1(VALU_DEP_4)
	v_add_f64_e32 v[214:215], v[214:215], v[22:23]
	v_fma_f64 v[22:23], v[108:109], s[28:29], v[216:217]
	v_mul_f64_e32 v[216:217], s[0:1], v[128:129]
	v_add_f64_e32 v[26:27], v[26:27], v[24:25]
	v_add_f64_e32 v[24:25], v[42:43], v[40:41]
	v_mul_f64_e32 v[42:43], s[34:35], v[118:119]
	v_mul_f64_e32 v[40:41], s[38:39], v[122:123]
	v_add_f64_e32 v[22:23], v[22:23], v[20:21]
	v_fma_f64 v[20:21], v[112:113], s[28:29], -v[218:219]
	v_mul_f64_e32 v[218:219], s[0:1], v[124:125]
	v_add_f64_e64 v[42:43], v[168:169], -v[42:43]
	v_add_f64_e64 v[40:41], v[180:181], -v[40:41]
	v_mul_f64_e32 v[168:169], s[16:17], v[128:129]
	v_mul_f64_e32 v[180:181], s[40:41], v[110:111]
	v_add_f64_e32 v[20:21], v[20:21], v[214:215]
	v_mul_f64_e32 v[214:215], s[34:35], v[116:117]
	v_add_f64_e32 v[28:29], v[42:43], v[28:29]
	v_mul_f64_e32 v[42:43], s[42:43], v[136:137]
	s_delay_alu instid0(VALU_DEP_2) | instskip(SKIP_1) | instid1(VALU_DEP_3)
	v_add_f64_e32 v[28:29], v[40:41], v[28:29]
	v_mul_f64_e32 v[40:41], s[26:27], v[106:107]
	v_add_f64_e64 v[42:43], v[200:201], -v[42:43]
	v_mul_f64_e32 v[200:201], s[52:53], v[130:131]
	s_delay_alu instid0(VALU_DEP_4) | instskip(NEXT) | instid1(VALU_DEP_4)
	v_add_f64_e32 v[28:29], v[58:59], v[28:29]
	v_add_f64_e32 v[40:41], v[40:41], v[198:199]
	v_mul_f64_e32 v[58:59], s[44:45], v[126:127]
	v_mul_f64_e32 v[198:199], s[52:53], v[134:135]
	s_delay_alu instid0(VALU_DEP_4) | instskip(NEXT) | instid1(VALU_DEP_4)
	v_add_f64_e32 v[28:29], v[70:71], v[28:29]
	v_add_f64_e32 v[40:41], v[40:41], v[30:31]
	s_delay_alu instid0(VALU_DEP_4) | instskip(SKIP_4) | instid1(VALU_DEP_4)
	v_add_f64_e64 v[58:59], v[172:173], -v[58:59]
	v_mul_f64_e32 v[70:71], s[40:41], v[128:129]
	v_mul_f64_e32 v[172:173], s[38:39], v[136:137]
	v_add_f64_e32 v[28:29], v[42:43], v[28:29]
	v_mul_f64_e32 v[42:43], s[30:31], v[118:119]
	v_add_f64_e64 v[70:71], v[178:179], -v[70:71]
	v_mul_f64_e32 v[178:179], s[42:43], v[130:131]
	v_mul_f64_e32 v[130:131], s[36:37], v[130:131]
	v_add_f64_e32 v[30:31], v[46:47], v[28:29]
	v_add_f64_e32 v[28:29], v[44:45], v[40:41]
	v_mul_f64_e32 v[44:45], s[38:39], v[114:115]
	v_mul_f64_e32 v[40:41], s[46:47], v[122:123]
	v_add_f64_e64 v[42:43], v[156:157], -v[42:43]
	v_mul_f64_e32 v[46:47], s[24:25], v[94:95]
	s_delay_alu instid0(VALU_DEP_4) | instskip(NEXT) | instid1(VALU_DEP_4)
	v_add_f64_e64 v[44:45], v[140:141], -v[44:45]
	v_add_f64_e64 v[40:41], v[164:165], -v[40:41]
	v_mul_f64_e32 v[140:141], s[46:47], v[126:127]
	s_delay_alu instid0(VALU_DEP_4)
	v_add_f64_e32 v[46:47], v[46:47], v[162:163]
	v_mul_f64_e32 v[162:163], s[40:41], v[116:117]
	v_mul_f64_e32 v[164:165], s[52:53], v[126:127]
	;; [unrolled: 1-line block ×3, first 2 shown]
	v_add_f64_e32 v[32:33], v[44:45], v[32:33]
	v_mul_f64_e32 v[44:45], s[28:29], v[102:103]
	v_add_f64_e32 v[34:35], v[46:47], v[34:35]
	v_mul_f64_e32 v[46:47], s[48:49], v[134:135]
	s_delay_alu instid0(VALU_DEP_4) | instskip(NEXT) | instid1(VALU_DEP_4)
	v_add_f64_e32 v[32:33], v[42:43], v[32:33]
	v_add_f64_e32 v[44:45], v[44:45], v[174:175]
	v_mul_f64_e32 v[42:43], s[36:37], v[136:137]
	v_add_f64_e32 v[34:35], v[60:61], v[34:35]
	v_add_f64_e64 v[46:47], v[192:193], -v[46:47]
	v_mul_f64_e32 v[60:61], s[46:47], v[114:115]
	v_mul_f64_e32 v[174:175], s[38:39], v[132:133]
	;; [unrolled: 1-line block ×5, first 2 shown]
	v_add_f64_e32 v[32:33], v[40:41], v[32:33]
	v_mul_f64_e32 v[40:41], s[22:23], v[106:107]
	v_add_f64_e64 v[42:43], v[188:189], -v[42:43]
	v_add_f64_e32 v[34:35], v[44:45], v[34:35]
	v_mul_f64_e32 v[44:45], s[2:3], v[112:113]
	v_mul_f64_e32 v[188:189], s[34:35], v[120:121]
	v_mul_f64_e32 v[120:121], s[0:1], v[120:121]
	v_add_f64_e32 v[32:33], v[58:59], v[32:33]
	v_add_f64_e32 v[40:41], v[40:41], v[182:183]
	v_mul_f64_e32 v[58:59], s[46:47], v[132:133]
	s_mov_b32 s47, 0x3fc7851a
	v_add_f64_e32 v[44:45], v[44:45], v[190:191]
	s_wait_alu 0xfffe
	v_mul_f64_e32 v[156:157], s[46:47], v[118:119]
	v_mul_f64_e32 v[158:159], s[46:47], v[110:111]
	;; [unrolled: 1-line block ×6, first 2 shown]
	v_add_f64_e32 v[32:33], v[70:71], v[32:33]
	v_add_f64_e32 v[40:41], v[40:41], v[34:35]
	v_mul_f64_e32 v[70:71], s[30:31], v[114:115]
	s_delay_alu instid0(VALU_DEP_3) | instskip(SKIP_1) | instid1(VALU_DEP_2)
	v_add_f64_e32 v[32:33], v[42:43], v[32:33]
	v_fma_f64 v[42:43], v[88:89], s[24:25], v[138:139]
	v_add_f64_e32 v[34:35], v[46:47], v[32:33]
	v_add_f64_e32 v[32:33], v[44:45], v[40:41]
	v_fma_f64 v[40:41], v[76:77], s[20:21], -v[70:71]
	s_delay_alu instid0(VALU_DEP_4) | instskip(SKIP_1) | instid1(VALU_DEP_3)
	v_add_f64_e32 v[42:43], v[42:43], v[54:55]
	v_mul_f64_e32 v[54:55], s[40:41], v[78:79]
	v_add_f64_e32 v[36:37], v[40:41], v[36:37]
	v_fma_f64 v[40:41], v[88:89], s[20:21], v[72:73]
	s_delay_alu instid0(VALU_DEP_1) | instskip(SKIP_1) | instid1(VALU_DEP_1)
	v_add_f64_e32 v[38:39], v[40:41], v[38:39]
	v_fma_f64 v[40:41], v[86:87], s[24:25], -v[156:157]
	v_add_f64_e32 v[36:37], v[40:41], v[36:37]
	v_fma_f64 v[40:41], v[90:91], s[24:25], v[158:159]
	s_delay_alu instid0(VALU_DEP_1) | instskip(SKIP_1) | instid1(VALU_DEP_1)
	v_add_f64_e32 v[38:39], v[40:41], v[38:39]
	v_fma_f64 v[40:41], v[92:93], s[28:29], -v[160:161]
	;; [unrolled: 5-line block ×6, first 2 shown]
	v_add_f64_e32 v[38:39], v[38:39], v[36:37]
	v_fma_f64 v[36:37], v[112:113], s[26:27], v[178:179]
	s_delay_alu instid0(VALU_DEP_1) | instskip(SKIP_2) | instid1(VALU_DEP_2)
	v_add_f64_e32 v[36:37], v[36:37], v[40:41]
	v_fma_f64 v[40:41], v[76:77], s[24:25], -v[60:61]
	v_fma_f64 v[60:61], v[76:77], s[24:25], v[60:61]
	v_add_f64_e32 v[40:41], v[40:41], v[152:153]
	v_mul_f64_e32 v[152:153], s[40:41], v[118:119]
	s_delay_alu instid0(VALU_DEP_3) | instskip(NEXT) | instid1(VALU_DEP_2)
	v_add_f64_e32 v[60:61], v[60:61], v[148:149]
	v_fma_f64 v[44:45], v[86:87], s[28:29], -v[152:153]
	s_delay_alu instid0(VALU_DEP_1) | instskip(SKIP_1) | instid1(VALU_DEP_1)
	v_add_f64_e32 v[40:41], v[44:45], v[40:41]
	v_fma_f64 v[44:45], v[90:91], s[28:29], v[180:181]
	v_add_f64_e32 v[42:43], v[44:45], v[42:43]
	v_fma_f64 v[44:45], v[92:93], s[2:3], -v[182:183]
	s_delay_alu instid0(VALU_DEP_1) | instskip(SKIP_1) | instid1(VALU_DEP_1)
	v_add_f64_e32 v[40:41], v[44:45], v[40:41]
	v_fma_f64 v[44:45], v[94:95], s[2:3], v[184:185]
	;; [unrolled: 5-line block ×6, first 2 shown]
	v_add_f64_e32 v[40:41], v[40:41], v[44:45]
	v_fma_f64 v[44:45], v[76:77], s[26:27], -v[202:203]
	s_delay_alu instid0(VALU_DEP_1) | instskip(SKIP_3) | instid1(VALU_DEP_4)
	v_add_f64_e32 v[44:45], v[44:45], v[146:147]
	v_mul_f64_e32 v[146:147], s[44:45], v[78:79]
	v_fma_f64 v[78:79], v[88:89], s[28:29], v[54:55]
	v_fma_f64 v[54:55], v[88:89], s[28:29], -v[54:55]
	v_add_f64_e32 v[44:45], v[48:49], v[44:45]
	s_delay_alu instid0(VALU_DEP_4)
	v_fma_f64 v[46:47], v[88:89], s[26:27], v[146:147]
	v_fma_f64 v[48:49], v[90:91], s[4:5], v[206:207]
	v_add_f64_e32 v[50:51], v[78:79], v[50:51]
	v_mul_f64_e32 v[78:79], s[16:17], v[118:119]
	v_add_f64_e32 v[54:55], v[54:55], v[62:63]
	v_add_f64_e32 v[46:47], v[46:47], v[52:53]
	v_mul_f64_e32 v[52:53], s[40:41], v[114:115]
	s_delay_alu instid0(VALU_DEP_4) | instskip(SKIP_1) | instid1(VALU_DEP_4)
	v_fma_f64 v[114:115], v[86:87], s[2:3], -v[78:79]
	v_fma_f64 v[62:63], v[86:87], s[2:3], v[78:79]
	v_add_f64_e32 v[46:47], v[48:49], v[46:47]
	v_fma_f64 v[48:49], v[92:93], s[22:23], -v[208:209]
	s_delay_alu instid0(VALU_DEP_1) | instskip(SKIP_1) | instid1(VALU_DEP_1)
	v_add_f64_e32 v[44:45], v[48:49], v[44:45]
	v_fma_f64 v[48:49], v[94:95], s[22:23], v[214:215]
	v_add_f64_e32 v[46:47], v[48:49], v[46:47]
	v_fma_f64 v[48:49], v[96:97], s[24:25], -v[140:141]
	s_delay_alu instid0(VALU_DEP_1) | instskip(SKIP_1) | instid1(VALU_DEP_1)
	v_add_f64_e32 v[44:45], v[48:49], v[44:45]
	;; [unrolled: 5-line block ×5, first 2 shown]
	v_fma_f64 v[44:45], v[112:113], s[20:21], v[222:223]
	v_add_f64_e32 v[44:45], v[44:45], v[48:49]
	v_fma_f64 v[48:49], v[76:77], s[28:29], -v[52:53]
	v_fma_f64 v[52:53], v[76:77], s[28:29], v[52:53]
	s_delay_alu instid0(VALU_DEP_2) | instskip(NEXT) | instid1(VALU_DEP_2)
	v_add_f64_e32 v[48:49], v[48:49], v[142:143]
	v_add_f64_e32 v[52:53], v[52:53], v[74:75]
	s_delay_alu instid0(VALU_DEP_2) | instskip(SKIP_1) | instid1(VALU_DEP_3)
	v_add_f64_e32 v[48:49], v[114:115], v[48:49]
	v_fma_f64 v[114:115], v[90:91], s[2:3], v[110:111]
	v_add_f64_e32 v[52:53], v[62:63], v[52:53]
	v_fma_f64 v[62:63], v[90:91], s[2:3], -v[110:111]
	s_delay_alu instid0(VALU_DEP_3) | instskip(SKIP_1) | instid1(VALU_DEP_3)
	v_add_f64_e32 v[50:51], v[114:115], v[50:51]
	v_mul_f64_e32 v[114:115], s[42:43], v[122:123]
	v_add_f64_e32 v[54:55], v[62:63], v[54:55]
	s_delay_alu instid0(VALU_DEP_2) | instskip(SKIP_1) | instid1(VALU_DEP_2)
	v_fma_f64 v[118:119], v[92:93], s[26:27], -v[114:115]
	v_fma_f64 v[62:63], v[92:93], s[26:27], v[114:115]
	v_add_f64_e32 v[48:49], v[118:119], v[48:49]
	v_fma_f64 v[118:119], v[94:95], s[26:27], v[116:117]
	s_delay_alu instid0(VALU_DEP_3) | instskip(SKIP_1) | instid1(VALU_DEP_3)
	v_add_f64_e32 v[52:53], v[62:63], v[52:53]
	v_fma_f64 v[62:63], v[94:95], s[26:27], -v[116:117]
	v_add_f64_e32 v[50:51], v[118:119], v[50:51]
	v_mul_f64_e32 v[118:119], s[0:1], v[126:127]
	s_delay_alu instid0(VALU_DEP_3) | instskip(NEXT) | instid1(VALU_DEP_2)
	v_add_f64_e32 v[54:55], v[62:63], v[54:55]
	v_fma_f64 v[122:123], v[96:97], s[18:19], -v[118:119]
	v_fma_f64 v[62:63], v[96:97], s[18:19], v[118:119]
	s_delay_alu instid0(VALU_DEP_2) | instskip(SKIP_1) | instid1(VALU_DEP_3)
	v_add_f64_e32 v[48:49], v[122:123], v[48:49]
	v_fma_f64 v[122:123], v[98:99], s[18:19], v[120:121]
	v_add_f64_e32 v[52:53], v[62:63], v[52:53]
	v_fma_f64 v[62:63], v[98:99], s[18:19], -v[120:121]
	s_delay_alu instid0(VALU_DEP_3) | instskip(SKIP_1) | instid1(VALU_DEP_3)
	v_add_f64_e32 v[50:51], v[122:123], v[50:51]
	v_mul_f64_e32 v[122:123], s[12:13], v[128:129]
	v_add_f64_e32 v[54:55], v[62:63], v[54:55]
	v_mul_f64_e32 v[128:129], s[36:37], v[134:135]
	s_delay_alu instid0(VALU_DEP_3) | instskip(SKIP_1) | instid1(VALU_DEP_2)
	v_fma_f64 v[126:127], v[100:101], s[4:5], -v[122:123]
	v_fma_f64 v[62:63], v[100:101], s[4:5], v[122:123]
	v_add_f64_e32 v[48:49], v[126:127], v[48:49]
	v_fma_f64 v[126:127], v[102:103], s[4:5], v[124:125]
	s_delay_alu instid0(VALU_DEP_3) | instskip(SKIP_1) | instid1(VALU_DEP_3)
	v_add_f64_e32 v[52:53], v[62:63], v[52:53]
	v_fma_f64 v[62:63], v[102:103], s[4:5], -v[124:125]
	v_add_f64_e32 v[50:51], v[126:127], v[50:51]
	v_fma_f64 v[126:127], v[104:105], s[24:25], -v[56:57]
	v_fma_f64 v[56:57], v[104:105], s[24:25], v[56:57]
	s_delay_alu instid0(VALU_DEP_4) | instskip(SKIP_1) | instid1(VALU_DEP_4)
	v_add_f64_e32 v[54:55], v[62:63], v[54:55]
	v_fma_f64 v[62:63], v[86:87], s[4:5], v[204:205]
	v_add_f64_e32 v[48:49], v[126:127], v[48:49]
	s_delay_alu instid0(VALU_DEP_4) | instskip(SKIP_3) | instid1(VALU_DEP_3)
	v_add_f64_e32 v[52:53], v[56:57], v[52:53]
	v_fma_f64 v[56:57], v[106:107], s[24:25], -v[58:59]
	v_fma_f64 v[126:127], v[106:107], s[24:25], v[58:59]
	v_fma_f64 v[58:59], v[112:113], s[22:23], -v[130:131]
	v_add_f64_e32 v[56:57], v[56:57], v[54:55]
	v_fma_f64 v[54:55], v[108:109], s[22:23], v[128:129]
	s_delay_alu instid0(VALU_DEP_4) | instskip(SKIP_1) | instid1(VALU_DEP_3)
	v_add_f64_e32 v[126:127], v[126:127], v[50:51]
	v_fma_f64 v[50:51], v[108:109], s[22:23], -v[128:129]
	v_add_f64_e32 v[54:55], v[54:55], v[52:53]
	v_add_f64_e32 v[52:53], v[58:59], v[56:57]
	v_fma_f64 v[56:57], v[76:77], s[26:27], v[202:203]
	v_fma_f64 v[58:59], v[88:89], s[26:27], -v[146:147]
	v_add_f64_e32 v[50:51], v[50:51], v[48:49]
	v_fma_f64 v[48:49], v[112:113], s[22:23], v[130:131]
	s_delay_alu instid0(VALU_DEP_4) | instskip(NEXT) | instid1(VALU_DEP_4)
	v_add_f64_e32 v[56:57], v[56:57], v[144:145]
	v_add_f64_e32 v[58:59], v[58:59], v[64:65]
	v_fma_f64 v[64:65], v[112:113], s[20:21], -v[222:223]
	s_delay_alu instid0(VALU_DEP_4) | instskip(NEXT) | instid1(VALU_DEP_4)
	v_add_f64_e32 v[48:49], v[48:49], v[126:127]
	v_add_f64_e32 v[56:57], v[62:63], v[56:57]
	v_fma_f64 v[62:63], v[90:91], s[4:5], -v[206:207]
	s_delay_alu instid0(VALU_DEP_1) | instskip(SKIP_1) | instid1(VALU_DEP_1)
	v_add_f64_e32 v[58:59], v[62:63], v[58:59]
	v_fma_f64 v[62:63], v[92:93], s[22:23], v[208:209]
	v_add_f64_e32 v[56:57], v[62:63], v[56:57]
	v_fma_f64 v[62:63], v[94:95], s[22:23], -v[214:215]
	s_delay_alu instid0(VALU_DEP_1) | instskip(SKIP_1) | instid1(VALU_DEP_1)
	v_add_f64_e32 v[58:59], v[62:63], v[58:59]
	v_fma_f64 v[62:63], v[96:97], s[24:25], v[140:141]
	;; [unrolled: 5-line block ×5, first 2 shown]
	v_add_f64_e32 v[58:59], v[58:59], v[56:57]
	s_delay_alu instid0(VALU_DEP_3) | instskip(SKIP_2) | instid1(VALU_DEP_2)
	v_add_f64_e32 v[56:57], v[64:65], v[62:63]
	v_fma_f64 v[62:63], v[88:89], s[24:25], -v[138:139]
	v_fma_f64 v[64:65], v[86:87], s[28:29], v[152:153]
	v_add_f64_e32 v[62:63], v[62:63], v[66:67]
	s_delay_alu instid0(VALU_DEP_2) | instskip(SKIP_2) | instid1(VALU_DEP_2)
	v_add_f64_e32 v[60:61], v[64:65], v[60:61]
	v_fma_f64 v[64:65], v[90:91], s[28:29], -v[180:181]
	v_fma_f64 v[66:67], v[112:113], s[4:5], -v[200:201]
	v_add_f64_e32 v[62:63], v[64:65], v[62:63]
	v_fma_f64 v[64:65], v[92:93], s[2:3], v[182:183]
	s_delay_alu instid0(VALU_DEP_1) | instskip(SKIP_1) | instid1(VALU_DEP_1)
	v_add_f64_e32 v[60:61], v[64:65], v[60:61]
	v_fma_f64 v[64:65], v[94:95], s[2:3], -v[184:185]
	v_add_f64_e32 v[62:63], v[64:65], v[62:63]
	v_fma_f64 v[64:65], v[96:97], s[22:23], v[186:187]
	s_delay_alu instid0(VALU_DEP_1) | instskip(SKIP_1) | instid1(VALU_DEP_1)
	v_add_f64_e32 v[60:61], v[64:65], v[60:61]
	;; [unrolled: 5-line block ×4, first 2 shown]
	v_fma_f64 v[64:65], v[106:107], s[20:21], -v[196:197]
	v_add_f64_e32 v[64:65], v[64:65], v[62:63]
	v_fma_f64 v[62:63], v[108:109], s[4:5], v[198:199]
	s_delay_alu instid0(VALU_DEP_1) | instskip(NEXT) | instid1(VALU_DEP_3)
	v_add_f64_e32 v[62:63], v[62:63], v[60:61]
	v_add_f64_e32 v[60:61], v[66:67], v[64:65]
	v_fma_f64 v[64:65], v[76:77], s[20:21], v[70:71]
	v_fma_f64 v[66:67], v[88:89], s[20:21], -v[72:73]
	v_fma_f64 v[70:71], v[86:87], s[24:25], v[156:157]
	v_fma_f64 v[72:73], v[90:91], s[24:25], -v[158:159]
	s_delay_alu instid0(VALU_DEP_4) | instskip(NEXT) | instid1(VALU_DEP_4)
	v_add_f64_e32 v[64:65], v[64:65], v[154:155]
	v_add_f64_e32 v[66:67], v[66:67], v[68:69]
	v_fma_f64 v[68:69], v[92:93], s[28:29], v[160:161]
	s_delay_alu instid0(VALU_DEP_3) | instskip(SKIP_1) | instid1(VALU_DEP_4)
	v_add_f64_e32 v[64:65], v[70:71], v[64:65]
	v_fma_f64 v[70:71], v[94:95], s[28:29], -v[162:163]
	v_add_f64_e32 v[66:67], v[72:73], v[66:67]
	v_fma_f64 v[72:73], v[96:97], s[4:5], v[164:165]
	s_delay_alu instid0(VALU_DEP_4) | instskip(SKIP_1) | instid1(VALU_DEP_4)
	v_add_f64_e32 v[64:65], v[68:69], v[64:65]
	v_fma_f64 v[68:69], v[98:99], s[4:5], -v[166:167]
	v_add_f64_e32 v[66:67], v[70:71], v[66:67]
	v_fma_f64 v[70:71], v[100:101], s[2:3], v[168:169]
	s_delay_alu instid0(VALU_DEP_4) | instskip(SKIP_1) | instid1(VALU_DEP_4)
	;; [unrolled: 5-line block ×4, first 2 shown]
	v_add_f64_e32 v[64:65], v[68:69], v[64:65]
	v_fma_f64 v[68:69], v[112:113], s[26:27], -v[178:179]
	v_add_f64_e32 v[70:71], v[70:71], v[66:67]
	s_delay_alu instid0(VALU_DEP_3) | instskip(NEXT) | instid1(VALU_DEP_2)
	v_add_f64_e32 v[66:67], v[72:73], v[64:65]
	v_add_f64_e32 v[64:65], v[68:69], v[70:71]
	v_mul_u32_u24_e32 v68, 0x110, v82
	s_delay_alu instid0(VALU_DEP_1)
	v_add3_u32 v68, 0, v68, v213
	ds_store_b128 v68, v[8:11]
	ds_store_b128 v68, v[28:31] offset:16
	ds_store_b128 v68, v[32:35] offset:32
	;; [unrolled: 1-line block ×16, first 2 shown]
.LBB0_14:
	s_or_b32 exec_lo, exec_lo, s33
	global_wb scope:SCOPE_SE
	s_wait_dscnt 0x0
	s_barrier_signal -1
	s_barrier_wait -1
	global_inv scope:SCOPE_SE
	ds_load_b128 v[28:31], v211
	ds_load_b128 v[20:23], v212 offset:1360
	ds_load_b128 v[56:59], v212 offset:8704
	ds_load_b128 v[32:35], v212 offset:10064
	ds_load_b128 v[60:63], v212 offset:17408
	ds_load_b128 v[36:39], v212 offset:18768
	ds_load_b128 v[76:79], v212 offset:4352
	ds_load_b128 v[24:27], v212 offset:2720
	ds_load_b128 v[64:67], v212 offset:5712
	ds_load_b128 v[40:43], v212 offset:7072
	ds_load_b128 v[72:75], v212 offset:13056
	ds_load_b128 v[44:47], v212 offset:11424
	ds_load_b128 v[68:71], v212 offset:14416
	ds_load_b128 v[48:51], v212 offset:15776
	ds_load_b128 v[52:55], v212 offset:20128
	v_cmp_gt_u32_e64 s0, 17, v82
	s_wait_alu 0xfffe
	s_add_nc_u64 s[2:3], s[14:15], s[10:11]
                                        ; implicit-def: $vgpr18_vgpr19
                                        ; implicit-def: $vgpr14_vgpr15
                                        ; implicit-def: $vgpr10_vgpr11
	s_delay_alu instid0(VALU_DEP_1)
	s_and_saveexec_b32 s1, s0
	s_cbranch_execz .LBB0_16
; %bb.15:
	ds_load_b128 v[0:3], v212 offset:4080
	ds_load_b128 v[4:7], v212 offset:8432
	;; [unrolled: 1-line block ×5, first 2 shown]
.LBB0_16:
	s_wait_alu 0xfffe
	s_or_b32 exec_lo, exec_lo, s1
	v_and_b32_e32 v86, 0xff, v82
	v_add_nc_u16 v88, v82, 0x55
	v_add_nc_u16 v90, v82, 0xaa
	s_mov_b32 s10, 0x134454ff
	s_mov_b32 s11, 0xbfee6f0e
	v_mul_lo_u16 v86, 0xf1, v86
	v_and_b32_e32 v87, 0xff, v88
	v_and_b32_e32 v92, 0xff, v90
	s_mov_b32 s15, 0x3fee6f0e
	s_wait_alu 0xfffe
	s_mov_b32 s14, s10
	v_lshrrev_b16 v86, 12, v86
	v_mul_lo_u16 v87, 0xf1, v87
	s_mov_b32 s4, 0x4755a5e
	s_mov_b32 s5, 0xbfe2cf23
	s_mov_b32 s13, 0x3fe2cf23
	v_mul_lo_u16 v89, v86, 17
	v_lshrrev_b16 v91, 12, v87
	s_wait_alu 0xfffe
	s_mov_b32 s12, s4
	s_mov_b32 s16, 0x372fe950
	;; [unrolled: 1-line block ×3, first 2 shown]
	v_sub_nc_u16 v87, v82, v89
	v_mul_lo_u16 v89, 0xf1, v92
	v_mul_lo_u16 v92, v91, 17
	v_and_b32_e32 v86, 0xffff, v86
	v_and_b32_e32 v91, 0xffff, v91
	;; [unrolled: 1-line block ×3, first 2 shown]
	v_lshrrev_b16 v89, 12, v89
	v_sub_nc_u16 v88, v88, v92
	v_mad_u32_u24 v86, 0x550, v86, 0
	v_mad_u32_u24 v91, 0x550, v91, 0
	v_lshlrev_b32_e32 v104, 6, v87
	v_mul_lo_u16 v100, v89, 17
	v_and_b32_e32 v88, 0xff, v88
	v_and_b32_e32 v89, 0xffff, v89
	v_lshlrev_b32_e32 v87, 4, v87
	s_clause 0x1
	global_load_b128 v[92:95], v104, s[8:9]
	global_load_b128 v[96:99], v104, s[8:9] offset:16
	v_sub_nc_u16 v90, v90, v100
	global_load_b128 v[100:103], v104, s[8:9] offset:32
	v_lshlrev_b32_e32 v120, 6, v88
	s_clause 0x3
	global_load_b128 v[104:107], v104, s[8:9] offset:48
	global_load_b128 v[108:111], v120, s[8:9]
	global_load_b128 v[112:115], v120, s[8:9] offset:16
	global_load_b128 v[116:119], v120, s[8:9] offset:32
	v_and_b32_e32 v90, 0xff, v90
	v_mad_u32_u24 v89, 0x550, v89, 0
	v_add3_u32 v86, v86, v87, v213
	v_lshlrev_b32_e32 v87, 4, v88
	s_delay_alu instid0(VALU_DEP_4)
	v_lshlrev_b32_e32 v136, 6, v90
	s_clause 0x4
	global_load_b128 v[120:123], v120, s[8:9] offset:48
	global_load_b128 v[124:127], v136, s[8:9]
	global_load_b128 v[128:131], v136, s[8:9] offset:16
	global_load_b128 v[132:135], v136, s[8:9] offset:32
	;; [unrolled: 1-line block ×3, first 2 shown]
	s_load_b64 s[2:3], s[2:3], 0x0
	v_lshlrev_b32_e32 v88, 4, v90
	global_wb scope:SCOPE_SE
	s_wait_loadcnt_dscnt 0x0
	s_wait_kmcnt 0x0
	s_barrier_signal -1
	s_barrier_wait -1
	global_inv scope:SCOPE_SE
	v_add3_u32 v87, v91, v87, v213
	v_add3_u32 v88, v89, v88, v213
	v_mul_f64_e32 v[140:141], v[78:79], v[94:95]
	v_mul_f64_e32 v[142:143], v[58:59], v[98:99]
	;; [unrolled: 1-line block ×24, first 2 shown]
	v_fma_f64 v[76:77], v[76:77], v[92:93], v[140:141]
	v_fma_f64 v[56:57], v[56:57], v[96:97], v[142:143]
	v_fma_f64 v[58:59], v[58:59], v[96:97], -v[98:99]
	v_fma_f64 v[72:73], v[72:73], v[100:101], v[144:145]
	v_fma_f64 v[74:75], v[74:75], v[100:101], -v[102:103]
	v_fma_f64 v[78:79], v[78:79], v[92:93], -v[94:95]
	v_fma_f64 v[60:61], v[60:61], v[104:105], v[146:147]
	v_fma_f64 v[62:63], v[62:63], v[104:105], -v[106:107]
	v_fma_f64 v[32:33], v[32:33], v[112:113], v[150:151]
	v_fma_f64 v[68:69], v[68:69], v[116:117], v[152:153]
	v_fma_f64 v[34:35], v[34:35], v[112:113], -v[114:115]
	v_fma_f64 v[70:71], v[70:71], v[116:117], -v[118:119]
	v_fma_f64 v[64:65], v[64:65], v[108:109], v[148:149]
	v_fma_f64 v[66:67], v[66:67], v[108:109], -v[110:111]
	v_fma_f64 v[36:37], v[36:37], v[120:121], v[154:155]
	;; [unrolled: 2-line block ×3, first 2 shown]
	v_fma_f64 v[48:49], v[48:49], v[132:133], v[160:161]
	v_fma_f64 v[46:47], v[46:47], v[128:129], -v[130:131]
	v_fma_f64 v[50:51], v[50:51], v[132:133], -v[134:135]
	v_fma_f64 v[40:41], v[40:41], v[124:125], v[156:157]
	v_fma_f64 v[42:43], v[42:43], v[124:125], -v[126:127]
	v_fma_f64 v[52:53], v[52:53], v[136:137], v[162:163]
	v_fma_f64 v[54:55], v[54:55], v[136:137], -v[138:139]
	v_add_f64_e32 v[94:95], v[28:29], v[76:77]
	v_add_f64_e64 v[106:107], v[76:77], -v[56:57]
	v_add_f64_e64 v[114:115], v[56:57], -v[76:77]
	v_add_f64_e32 v[92:93], v[56:57], v[72:73]
	v_add_f64_e32 v[100:101], v[58:59], v[74:75]
	;; [unrolled: 1-line block ×5, first 2 shown]
	v_add_f64_e64 v[98:99], v[78:79], -v[62:63]
	v_add_f64_e32 v[108:109], v[32:33], v[68:69]
	v_add_f64_e64 v[110:111], v[60:61], -v[72:73]
	v_add_f64_e32 v[116:117], v[34:35], v[70:71]
	v_add_f64_e64 v[118:119], v[72:73], -v[60:61]
	v_add_f64_e64 v[76:77], v[76:77], -v[60:61]
	v_add_f64_e32 v[140:141], v[20:21], v[64:65]
	v_add_f64_e32 v[112:113], v[64:65], v[36:37]
	;; [unrolled: 1-line block ×5, first 2 shown]
	v_add_f64_e64 v[102:103], v[58:59], -v[74:75]
	v_add_f64_e32 v[130:131], v[46:47], v[50:51]
	v_add_f64_e32 v[158:159], v[24:25], v[40:41]
	v_add_f64_e64 v[128:129], v[56:57], -v[72:73]
	v_add_f64_e32 v[126:127], v[40:41], v[52:53]
	v_add_f64_e32 v[132:133], v[42:43], v[54:55]
	v_add_f64_e64 v[134:135], v[78:79], -v[58:59]
	v_add_f64_e64 v[136:137], v[62:63], -v[74:75]
	v_add_f64_e32 v[160:161], v[26:27], v[42:43]
	v_add_f64_e64 v[142:143], v[66:67], -v[38:39]
	v_add_f64_e64 v[146:147], v[64:65], -v[32:33]
	;; [unrolled: 1-line block ×13, first 2 shown]
	v_fma_f64 v[92:93], v[92:93], -0.5, v[28:29]
	v_fma_f64 v[100:101], v[100:101], -0.5, v[30:31]
	v_add_f64_e64 v[66:67], v[34:35], -v[66:67]
	v_fma_f64 v[28:29], v[96:97], -0.5, v[28:29]
	v_fma_f64 v[30:31], v[104:105], -0.5, v[30:31]
	v_add_f64_e64 v[104:105], v[70:71], -v[38:39]
	v_fma_f64 v[108:109], v[108:109], -0.5, v[20:21]
	v_add_f64_e64 v[166:167], v[40:41], -v[44:45]
	;; [unrolled: 2-line block ×3, first 2 shown]
	v_add_f64_e64 v[170:171], v[42:43], -v[46:47]
	v_add_f64_e64 v[42:43], v[46:47], -v[42:43]
	v_fma_f64 v[20:21], v[112:113], -0.5, v[20:21]
	v_fma_f64 v[22:23], v[120:121], -0.5, v[22:23]
	v_add_f64_e64 v[112:113], v[46:47], -v[50:51]
	v_fma_f64 v[124:125], v[124:125], -0.5, v[24:25]
	v_add_f64_e64 v[120:121], v[52:53], -v[48:49]
	;; [unrolled: 2-line block ×3, first 2 shown]
	v_add_f64_e32 v[56:57], v[94:95], v[56:57]
	v_fma_f64 v[24:25], v[126:127], -0.5, v[24:25]
	v_add_f64_e64 v[126:127], v[44:45], -v[48:49]
	v_fma_f64 v[26:27], v[132:133], -0.5, v[26:27]
	v_add_f64_e64 v[132:133], v[48:49], -v[52:53]
	v_add_f64_e32 v[58:59], v[122:123], v[58:59]
	v_add_f64_e32 v[94:95], v[106:107], v[110:111]
	;; [unrolled: 1-line block ×8, first 2 shown]
	v_add_f64_e64 v[96:97], v[38:39], -v[70:71]
	v_add_f64_e32 v[78:79], v[78:79], v[138:139]
	v_add_f64_e64 v[172:173], v[54:55], -v[50:51]
	v_add_f64_e32 v[146:147], v[146:147], v[148:149]
	v_add_f64_e32 v[148:149], v[150:151], v[152:153]
	v_fma_f64 v[114:115], v[98:99], s[10:11], v[92:93]
	v_fma_f64 v[122:123], v[76:77], s[14:15], v[100:101]
	;; [unrolled: 1-line block ×24, first 2 shown]
	v_add_f64_e32 v[66:67], v[66:67], v[104:105]
	v_add_f64_e32 v[104:105], v[166:167], v[120:121]
	v_add_f64_e32 v[120:121], v[40:41], v[132:133]
	v_add_f64_e32 v[150:151], v[42:43], v[174:175]
	v_add_f64_e32 v[40:41], v[56:57], v[72:73]
	v_add_f64_e32 v[42:43], v[58:59], v[74:75]
	v_add_f64_e32 v[32:33], v[32:33], v[68:69]
	v_add_f64_e32 v[34:35], v[34:35], v[70:71]
	v_add_f64_e32 v[44:45], v[44:45], v[48:49]
	v_add_f64_e32 v[46:47], v[46:47], v[50:51]
	v_add_f64_e32 v[96:97], v[162:163], v[96:97]
	v_add_f64_e32 v[132:133], v[170:171], v[172:173]
	v_fma_f64 v[48:49], v[102:103], s[4:5], v[114:115]
	v_fma_f64 v[68:69], v[128:129], s[12:13], v[122:123]
	;; [unrolled: 1-line block ×24, first 2 shown]
	v_add_f64_e32 v[20:21], v[40:41], v[60:61]
	v_add_f64_e32 v[22:23], v[42:43], v[62:63]
	;; [unrolled: 1-line block ×6, first 2 shown]
	v_fma_f64 v[32:33], v[94:95], s[16:17], v[48:49]
	v_fma_f64 v[34:35], v[110:111], s[16:17], v[68:69]
	;; [unrolled: 1-line block ×24, first 2 shown]
	ds_store_b128 v86, v[20:23]
	ds_store_b128 v86, v[32:35] offset:272
	ds_store_b128 v86, v[40:43] offset:544
	ds_store_b128 v86, v[44:47] offset:816
	ds_store_b128 v86, v[36:39] offset:1088
	ds_store_b128 v87, v[24:27]
	ds_store_b128 v87, v[48:51] offset:272
	ds_store_b128 v87, v[56:59] offset:544
	ds_store_b128 v87, v[60:63] offset:816
	ds_store_b128 v87, v[52:55] offset:1088
	;; [unrolled: 5-line block ×3, first 2 shown]
	s_and_saveexec_b32 s1, s0
	s_cbranch_execz .LBB0_18
; %bb.17:
	v_add_nc_u32_e32 v20, 0xff, v82
	s_delay_alu instid0(VALU_DEP_1) | instskip(NEXT) | instid1(VALU_DEP_1)
	v_and_b32_e32 v21, 0xffff, v20
	v_mul_u32_u24_e32 v21, 0xf0f1, v21
	s_delay_alu instid0(VALU_DEP_1) | instskip(NEXT) | instid1(VALU_DEP_1)
	v_lshrrev_b32_e32 v21, 20, v21
	v_mul_lo_u16 v21, v21, 17
	s_delay_alu instid0(VALU_DEP_1) | instskip(NEXT) | instid1(VALU_DEP_1)
	v_sub_nc_u16 v20, v20, v21
	v_and_b32_e32 v52, 0xffff, v20
	s_delay_alu instid0(VALU_DEP_1)
	v_lshlrev_b32_e32 v32, 6, v52
	s_clause 0x3
	global_load_b128 v[20:23], v32, s[8:9] offset:16
	global_load_b128 v[24:27], v32, s[8:9]
	global_load_b128 v[28:31], v32, s[8:9] offset:48
	global_load_b128 v[32:35], v32, s[8:9] offset:32
	s_wait_loadcnt 0x3
	v_mul_f64_e32 v[36:37], v[8:9], v[22:23]
	s_wait_loadcnt 0x2
	v_mul_f64_e32 v[38:39], v[4:5], v[26:27]
	;; [unrolled: 2-line block ×4, first 2 shown]
	v_mul_f64_e32 v[22:23], v[10:11], v[22:23]
	v_mul_f64_e32 v[34:35], v[14:15], v[34:35]
	;; [unrolled: 1-line block ×4, first 2 shown]
	v_fma_f64 v[10:11], v[10:11], v[20:21], -v[36:37]
	v_fma_f64 v[6:7], v[6:7], v[24:25], -v[38:39]
	;; [unrolled: 1-line block ×4, first 2 shown]
	v_fma_f64 v[8:9], v[8:9], v[20:21], v[22:23]
	v_fma_f64 v[12:13], v[12:13], v[32:33], v[34:35]
	v_fma_f64 v[4:5], v[4:5], v[24:25], v[26:27]
	v_fma_f64 v[16:17], v[16:17], v[28:29], v[30:31]
	v_add_f64_e32 v[32:33], v[2:3], v[6:7]
	v_add_f64_e32 v[20:21], v[6:7], v[18:19]
	;; [unrolled: 1-line block ×3, first 2 shown]
	v_add_f64_e64 v[36:37], v[6:7], -v[18:19]
	v_add_f64_e32 v[24:25], v[8:9], v[12:13]
	v_add_f64_e32 v[34:35], v[0:1], v[4:5]
	;; [unrolled: 1-line block ×3, first 2 shown]
	v_add_f64_e64 v[28:29], v[8:9], -v[12:13]
	v_add_f64_e64 v[30:31], v[4:5], -v[16:17]
	;; [unrolled: 1-line block ×8, first 2 shown]
	v_fma_f64 v[20:21], v[20:21], -0.5, v[2:3]
	v_fma_f64 v[2:3], v[22:23], -0.5, v[2:3]
	v_add_f64_e64 v[22:23], v[10:11], -v[14:15]
	v_fma_f64 v[24:25], v[24:25], -0.5, v[0:1]
	v_add_f64_e32 v[8:9], v[34:35], v[8:9]
	v_fma_f64 v[0:1], v[26:27], -0.5, v[0:1]
	v_add_f64_e64 v[26:27], v[10:11], -v[6:7]
	v_add_f64_e64 v[6:7], v[6:7], -v[10:11]
	v_add_f64_e32 v[10:11], v[32:33], v[10:11]
	v_fma_f64 v[32:33], v[28:29], s[14:15], v[20:21]
	v_fma_f64 v[20:21], v[28:29], s[10:11], v[20:21]
	;; [unrolled: 1-line block ×8, first 2 shown]
	v_add_f64_e32 v[26:27], v[26:27], v[38:39]
	v_add_f64_e32 v[38:39], v[6:7], v[40:41]
	;; [unrolled: 1-line block ×6, first 2 shown]
	v_fma_f64 v[8:9], v[30:31], s[4:5], v[32:33]
	v_fma_f64 v[10:11], v[30:31], s[12:13], v[20:21]
	;; [unrolled: 1-line block ×8, first 2 shown]
	v_add_f64_e32 v[2:3], v[4:5], v[18:19]
	v_add_f64_e32 v[0:1], v[6:7], v[16:17]
	v_fma_f64 v[6:7], v[26:27], s[16:17], v[8:9]
	v_fma_f64 v[10:11], v[26:27], s[16:17], v[10:11]
	;; [unrolled: 1-line block ×8, first 2 shown]
	v_lshlrev_b32_e32 v20, 4, v52
	s_delay_alu instid0(VALU_DEP_1)
	v_add3_u32 v20, 0, v20, v213
	ds_store_b128 v20, v[0:3] offset:20400
	ds_store_b128 v20, v[16:19] offset:20672
	;; [unrolled: 1-line block ×5, first 2 shown]
.LBB0_18:
	s_wait_alu 0xfffe
	s_or_b32 exec_lo, exec_lo, s1
	v_mul_u32_u24_e32 v0, 15, v82
	global_wb scope:SCOPE_SE
	s_wait_dscnt 0x0
	s_barrier_signal -1
	s_barrier_wait -1
	global_inv scope:SCOPE_SE
	v_lshlrev_b32_e32 v56, 4, v0
	s_mov_b32 s0, 0x667f3bcd
	s_mov_b32 s1, 0xbfe6a09e
	s_mov_b32 s5, 0x3fe6a09e
	s_wait_alu 0xfffe
	s_mov_b32 s4, s0
	s_clause 0xe
	global_load_b128 v[0:3], v56, s[8:9] offset:1088
	global_load_b128 v[4:7], v56, s[8:9] offset:1104
	;; [unrolled: 1-line block ×15, first 2 shown]
	ds_load_b128 v[60:63], v212 offset:1360
	ds_load_b128 v[64:67], v212 offset:2720
	ds_load_b128 v[68:71], v212 offset:4080
	ds_load_b128 v[72:75], v212 offset:5440
	ds_load_b128 v[76:79], v212 offset:6800
	ds_load_b128 v[86:89], v212 offset:8160
	ds_load_b128 v[90:93], v212 offset:9520
	ds_load_b128 v[94:97], v212 offset:10880
	ds_load_b128 v[98:101], v212 offset:12240
	ds_load_b128 v[102:105], v212 offset:13600
	ds_load_b128 v[106:109], v212 offset:14960
	ds_load_b128 v[110:113], v212 offset:16320
	ds_load_b128 v[114:117], v212 offset:17680
	ds_load_b128 v[118:121], v212 offset:19040
	ds_load_b128 v[122:125], v212 offset:20400
	s_mov_b32 s10, 0xcf328d46
	s_mov_b32 s11, 0xbfed906b
	;; [unrolled: 1-line block ×3, first 2 shown]
	s_wait_alu 0xfffe
	s_mov_b32 s16, s10
	s_mov_b32 s12, 0xa6aea964
	;; [unrolled: 1-line block ×4, first 2 shown]
	s_wait_alu 0xfffe
	s_mov_b32 s14, s12
	s_wait_loadcnt_dscnt 0xe0e
	v_mul_f64_e32 v[126:127], v[62:63], v[2:3]
	v_mul_f64_e32 v[2:3], v[60:61], v[2:3]
	s_wait_loadcnt_dscnt 0xd0d
	v_mul_f64_e32 v[128:129], v[66:67], v[6:7]
	v_mul_f64_e32 v[6:7], v[64:65], v[6:7]
	;; [unrolled: 3-line block ×9, first 2 shown]
	s_wait_loadcnt 0x5
	v_mul_f64_e32 v[144:145], v[104:105], v[38:39]
	v_mul_f64_e32 v[38:39], v[102:103], v[38:39]
	s_wait_loadcnt_dscnt 0x401
	v_mul_f64_e32 v[146:147], v[120:121], v[42:43]
	v_mul_f64_e32 v[42:43], v[118:119], v[42:43]
	s_wait_loadcnt 0x3
	v_mul_f64_e32 v[148:149], v[100:101], v[46:47]
	v_mul_f64_e32 v[46:47], v[98:99], v[46:47]
	s_wait_loadcnt 0x2
	;; [unrolled: 3-line block ×3, first 2 shown]
	v_mul_f64_e32 v[152:153], v[108:109], v[54:55]
	v_mul_f64_e32 v[54:55], v[106:107], v[54:55]
	s_wait_loadcnt_dscnt 0x0
	v_mul_f64_e32 v[154:155], v[122:123], v[58:59]
	v_mul_f64_e32 v[58:59], v[124:125], v[58:59]
	v_fma_f64 v[60:61], v[60:61], v[0:1], v[126:127]
	v_fma_f64 v[62:63], v[62:63], v[0:1], -v[2:3]
	v_fma_f64 v[64:65], v[64:65], v[4:5], v[128:129]
	v_fma_f64 v[4:5], v[66:67], v[4:5], -v[6:7]
	;; [unrolled: 2-line block ×14, first 2 shown]
	v_fma_f64 v[54:55], v[124:125], v[56:57], -v[154:155]
	v_fma_f64 v[56:57], v[122:123], v[56:57], v[58:59]
	ds_load_b128 v[0:3], v211
	global_wb scope:SCOPE_SE
	s_wait_dscnt 0x0
	s_barrier_signal -1
	s_barrier_wait -1
	global_inv scope:SCOPE_SE
	v_add_f64_e64 v[26:27], v[0:1], -v[26:27]
	v_add_f64_e64 v[28:29], v[2:3], -v[28:29]
	;; [unrolled: 1-line block ×16, first 2 shown]
	v_fma_f64 v[0:1], v[0:1], 2.0, -v[26:27]
	v_fma_f64 v[2:3], v[2:3], 2.0, -v[28:29]
	v_add_f64_e64 v[66:67], v[28:29], -v[30:31]
	v_add_f64_e32 v[58:59], v[26:27], v[32:33]
	v_fma_f64 v[10:11], v[10:11], 2.0, -v[30:31]
	v_fma_f64 v[12:13], v[12:13], 2.0, -v[32:33]
	v_add_f64_e64 v[70:71], v[36:37], -v[38:39]
	v_add_f64_e32 v[68:69], v[34:35], v[40:41]
	;; [unrolled: 4-line block ×3, first 2 shown]
	v_fma_f64 v[18:19], v[18:19], 2.0, -v[38:39]
	v_fma_f64 v[20:21], v[20:21], 2.0, -v[40:41]
	v_add_f64_e32 v[76:77], v[50:51], v[54:55]
	v_add_f64_e64 v[78:79], v[52:53], -v[56:57]
	v_fma_f64 v[32:33], v[60:61], 2.0, -v[42:43]
	v_fma_f64 v[38:39], v[62:63], 2.0, -v[44:45]
	v_fma_f64 v[14:15], v[14:15], 2.0, -v[46:47]
	v_fma_f64 v[16:17], v[16:17], 2.0, -v[48:49]
	v_fma_f64 v[6:7], v[6:7], 2.0, -v[50:51]
	v_fma_f64 v[8:9], v[8:9], 2.0, -v[52:53]
	v_fma_f64 v[24:25], v[24:25], 2.0, -v[54:55]
	v_fma_f64 v[22:23], v[22:23], 2.0, -v[56:57]
	v_fma_f64 v[28:29], v[28:29], 2.0, -v[66:67]
	v_fma_f64 v[26:27], v[26:27], 2.0, -v[58:59]
	v_add_f64_e64 v[10:11], v[0:1], -v[10:11]
	v_add_f64_e64 v[12:13], v[2:3], -v[12:13]
	v_fma_f64 v[36:37], v[36:37], 2.0, -v[70:71]
	v_fma_f64 v[34:35], v[34:35], 2.0, -v[68:69]
	v_fma_f64 v[48:49], v[68:69], s[4:5], v[58:59]
	v_fma_f64 v[40:41], v[42:43], 2.0, -v[72:73]
	v_fma_f64 v[42:43], v[44:45], 2.0, -v[74:75]
	v_add_f64_e64 v[18:19], v[30:31], -v[18:19]
	v_fma_f64 v[44:45], v[50:51], 2.0, -v[76:77]
	v_fma_f64 v[46:47], v[52:53], 2.0, -v[78:79]
	v_add_f64_e64 v[20:21], v[4:5], -v[20:21]
	v_fma_f64 v[50:51], v[70:71], s[4:5], v[66:67]
	v_add_f64_e64 v[14:15], v[32:33], -v[14:15]
	v_add_f64_e64 v[16:17], v[38:39], -v[16:17]
	v_fma_f64 v[52:53], v[76:77], s[4:5], v[72:73]
	v_fma_f64 v[54:55], v[78:79], s[4:5], v[74:75]
	v_add_f64_e64 v[24:25], v[8:9], -v[24:25]
	v_add_f64_e64 v[22:23], v[6:7], -v[22:23]
	v_fma_f64 v[0:1], v[0:1], 2.0, -v[10:11]
	v_fma_f64 v[2:3], v[2:3], 2.0, -v[12:13]
	v_fma_f64 v[60:61], v[36:37], s[0:1], v[28:29]
	v_fma_f64 v[56:57], v[34:35], s[0:1], v[26:27]
	;; [unrolled: 1-line block ×3, first 2 shown]
	v_fma_f64 v[30:31], v[30:31], 2.0, -v[18:19]
	v_fma_f64 v[62:63], v[44:45], s[0:1], v[40:41]
	v_fma_f64 v[64:65], v[46:47], s[0:1], v[42:43]
	v_fma_f64 v[4:5], v[4:5], 2.0, -v[20:21]
	v_add_f64_e32 v[86:87], v[10:11], v[20:21]
	v_add_f64_e64 v[88:89], v[12:13], -v[18:19]
	v_fma_f64 v[50:51], v[68:69], s[0:1], v[50:51]
	v_fma_f64 v[52:53], v[78:79], s[4:5], v[52:53]
	;; [unrolled: 1-line block ×3, first 2 shown]
	v_add_f64_e32 v[18:19], v[14:15], v[24:25]
	v_add_f64_e64 v[20:21], v[16:17], -v[22:23]
	v_fma_f64 v[32:33], v[32:33], 2.0, -v[14:15]
	v_fma_f64 v[38:39], v[38:39], 2.0, -v[16:17]
	;; [unrolled: 1-line block ×4, first 2 shown]
	v_fma_f64 v[60:61], v[34:35], s[0:1], v[60:61]
	v_fma_f64 v[56:57], v[36:37], s[4:5], v[56:57]
	v_fma_f64 v[58:59], v[58:59], 2.0, -v[48:49]
	v_fma_f64 v[22:23], v[46:47], s[4:5], v[62:63]
	v_fma_f64 v[24:25], v[44:45], s[0:1], v[64:65]
	v_add_f64_e64 v[44:45], v[0:1], -v[30:31]
	v_fma_f64 v[62:63], v[10:11], 2.0, -v[86:87]
	v_fma_f64 v[64:65], v[12:13], 2.0, -v[88:89]
	;; [unrolled: 1-line block ×4, first 2 shown]
	v_add_f64_e64 v[46:47], v[2:3], -v[4:5]
	v_fma_f64 v[14:15], v[14:15], 2.0, -v[18:19]
	v_fma_f64 v[12:13], v[16:17], 2.0, -v[20:21]
	;; [unrolled: 1-line block ×3, first 2 shown]
	v_fma_f64 v[4:5], v[18:19], s[4:5], v[86:87]
	v_add_f64_e64 v[10:11], v[32:33], -v[6:7]
	v_add_f64_e64 v[8:9], v[38:39], -v[8:9]
	v_fma_f64 v[6:7], v[20:21], s[4:5], v[88:89]
	v_fma_f64 v[36:37], v[54:55], s[16:17], v[50:51]
	v_fma_f64 v[70:71], v[28:29], 2.0, -v[60:61]
	v_fma_f64 v[68:69], v[26:27], 2.0, -v[56:57]
	v_fma_f64 v[26:27], v[52:53], s[16:17], v[48:49]
	v_fma_f64 v[34:35], v[40:41], 2.0, -v[22:23]
	v_fma_f64 v[28:29], v[42:43], 2.0, -v[24:25]
	v_fma_f64 v[90:91], v[22:23], s[12:13], v[56:57]
	v_fma_f64 v[92:93], v[24:25], s[12:13], v[60:61]
	v_fma_f64 v[72:73], v[0:1], 2.0, -v[44:45]
	s_wait_alu 0xfffe
	v_fma_f64 v[76:77], v[30:31], s[14:15], v[58:59]
	v_fma_f64 v[74:75], v[2:3], 2.0, -v[46:47]
	v_fma_f64 v[40:41], v[14:15], s[0:1], v[62:63]
	v_fma_f64 v[42:43], v[12:13], s[0:1], v[64:65]
	;; [unrolled: 1-line block ×4, first 2 shown]
	v_fma_f64 v[32:33], v[32:33], 2.0, -v[10:11]
	v_fma_f64 v[38:39], v[38:39], 2.0, -v[8:9]
	v_fma_f64 v[2:3], v[18:19], s[0:1], v[6:7]
	v_fma_f64 v[6:7], v[52:53], s[14:15], v[36:37]
	v_add_f64_e32 v[8:9], v[44:45], v[8:9]
	v_add_f64_e64 v[10:11], v[46:47], -v[10:11]
	v_fma_f64 v[4:5], v[54:55], s[12:13], v[26:27]
	v_fma_f64 v[94:95], v[34:35], s[10:11], v[68:69]
	;; [unrolled: 1-line block ×9, first 2 shown]
	s_mov_b32 s1, exec_lo
	v_add_f64_e64 v[24:25], v[72:73], -v[32:33]
	v_add_f64_e64 v[26:27], v[74:75], -v[38:39]
	v_fma_f64 v[32:33], v[86:87], 2.0, -v[0:1]
	v_fma_f64 v[38:39], v[50:51], 2.0, -v[6:7]
	;; [unrolled: 1-line block ×5, first 2 shown]
	v_fma_f64 v[28:29], v[28:29], s[12:13], v[94:95]
	v_fma_f64 v[30:31], v[34:35], s[14:15], v[96:97]
	v_fma_f64 v[34:35], v[88:89], 2.0, -v[2:3]
	v_fma_f64 v[52:53], v[56:57], 2.0, -v[20:21]
	;; [unrolled: 1-line block ×11, first 2 shown]
	ds_store_b128 v212, v[0:3] offset:19040
	ds_store_b128 v212, v[4:7] offset:20400
	;; [unrolled: 1-line block ×14, first 2 shown]
	ds_store_b128 v212, v[56:59]
	ds_store_b128 v212, v[60:63] offset:1360
	global_wb scope:SCOPE_SE
	s_wait_dscnt 0x0
	s_barrier_signal -1
	s_barrier_wait -1
	global_inv scope:SCOPE_SE
	ds_load_b128 v[4:7], v211
	v_sub_nc_u32_e32 v14, v210, v83
                                        ; implicit-def: $vgpr0_vgpr1
                                        ; implicit-def: $vgpr8_vgpr9
                                        ; implicit-def: $vgpr10_vgpr11
                                        ; implicit-def: $vgpr12_vgpr13
	v_cmpx_ne_u32_e32 0, v82
	s_wait_alu 0xfffe
	s_xor_b32 s1, exec_lo, s1
	s_cbranch_execz .LBB0_20
; %bb.19:
	v_mov_b32_e32 v83, 0
	s_delay_alu instid0(VALU_DEP_1) | instskip(NEXT) | instid1(VALU_DEP_1)
	v_lshlrev_b64_e32 v[0:1], 4, v[82:83]
	v_add_co_u32 v0, s0, s8, v0
	s_wait_alu 0xf1ff
	s_delay_alu instid0(VALU_DEP_2)
	v_add_co_ci_u32_e64 v1, s0, s9, v1, s0
	global_load_b128 v[15:18], v[0:1], off offset:21488
	ds_load_b128 v[0:3], v14 offset:21760
	s_wait_dscnt 0x0
	v_add_f64_e64 v[8:9], v[4:5], -v[0:1]
	v_add_f64_e32 v[10:11], v[6:7], v[2:3]
	v_add_f64_e64 v[2:3], v[6:7], -v[2:3]
	v_add_f64_e32 v[0:1], v[4:5], v[0:1]
	s_delay_alu instid0(VALU_DEP_4) | instskip(NEXT) | instid1(VALU_DEP_4)
	v_mul_f64_e32 v[6:7], 0.5, v[8:9]
	v_mul_f64_e32 v[4:5], 0.5, v[10:11]
	s_delay_alu instid0(VALU_DEP_4) | instskip(SKIP_1) | instid1(VALU_DEP_3)
	v_mul_f64_e32 v[2:3], 0.5, v[2:3]
	s_wait_loadcnt 0x0
	v_mul_f64_e32 v[8:9], v[6:7], v[17:18]
	s_delay_alu instid0(VALU_DEP_2) | instskip(SKIP_1) | instid1(VALU_DEP_3)
	v_fma_f64 v[10:11], v[4:5], v[17:18], v[2:3]
	v_fma_f64 v[2:3], v[4:5], v[17:18], -v[2:3]
	v_fma_f64 v[12:13], v[0:1], 0.5, v[8:9]
	v_fma_f64 v[0:1], v[0:1], 0.5, -v[8:9]
	s_delay_alu instid0(VALU_DEP_4) | instskip(NEXT) | instid1(VALU_DEP_4)
	v_fma_f64 v[10:11], -v[15:16], v[6:7], v[10:11]
	v_fma_f64 v[2:3], -v[15:16], v[6:7], v[2:3]
	s_delay_alu instid0(VALU_DEP_4) | instskip(NEXT) | instid1(VALU_DEP_4)
	v_fma_f64 v[8:9], v[4:5], v[15:16], v[12:13]
	v_fma_f64 v[0:1], -v[4:5], v[15:16], v[0:1]
	v_dual_mov_b32 v12, v82 :: v_dual_mov_b32 v13, v83
                                        ; implicit-def: $vgpr4_vgpr5
.LBB0_20:
	s_wait_alu 0xfffe
	s_and_not1_saveexec_b32 s0, s1
	s_cbranch_execz .LBB0_22
; %bb.21:
	s_wait_dscnt 0x0
	v_add_f64_e32 v[8:9], v[4:5], v[6:7]
	v_add_f64_e64 v[0:1], v[4:5], -v[6:7]
	ds_load_b64 v[4:5], v210 offset:10888
	v_mov_b32_e32 v10, 0
	v_dual_mov_b32 v11, 0 :: v_dual_mov_b32 v12, 0
	s_delay_alu instid0(VALU_DEP_2) | instskip(NEXT) | instid1(VALU_DEP_2)
	v_dual_mov_b32 v13, 0 :: v_dual_mov_b32 v2, v10
	v_mov_b32_e32 v3, v11
	s_wait_dscnt 0x0
	v_xor_b32_e32 v5, 0x80000000, v5
	ds_store_b64 v210, v[4:5] offset:10888
.LBB0_22:
	s_wait_alu 0xfffe
	s_or_b32 exec_lo, exec_lo, s0
	s_wait_dscnt 0x0
	v_lshlrev_b64_e32 v[4:5], 4, v[12:13]
	s_add_nc_u64 s[0:1], s[8:9], 0x53f0
	v_add_nc_u32_e32 v23, 0x800, v211
	s_wait_alu 0xfffe
	s_delay_alu instid0(VALU_DEP_2)
	v_add_co_u32 v12, s0, s0, v4
	s_wait_alu 0xf1ff
	v_add_co_ci_u32_e64 v13, s0, s1, v5, s0
	s_clause 0x1
	global_load_b128 v[4:7], v[12:13], off offset:1360
	global_load_b128 v[15:18], v[12:13], off offset:2720
	ds_store_2addr_b64 v211, v[8:9], v[10:11] offset1:1
	ds_store_b128 v14, v[0:3] offset:21760
	ds_load_b128 v[0:3], v211 offset:1360
	ds_load_b128 v[8:11], v14 offset:20400
	s_wait_dscnt 0x0
	v_add_f64_e64 v[19:20], v[0:1], -v[8:9]
	v_add_f64_e32 v[21:22], v[2:3], v[10:11]
	v_add_f64_e64 v[2:3], v[2:3], -v[10:11]
	v_add_f64_e32 v[0:1], v[0:1], v[8:9]
	s_delay_alu instid0(VALU_DEP_4) | instskip(NEXT) | instid1(VALU_DEP_4)
	v_mul_f64_e32 v[10:11], 0.5, v[19:20]
	v_mul_f64_e32 v[19:20], 0.5, v[21:22]
	s_delay_alu instid0(VALU_DEP_4) | instskip(SKIP_1) | instid1(VALU_DEP_3)
	v_mul_f64_e32 v[2:3], 0.5, v[2:3]
	s_wait_loadcnt 0x1
	v_mul_f64_e32 v[8:9], v[10:11], v[6:7]
	s_delay_alu instid0(VALU_DEP_2) | instskip(SKIP_1) | instid1(VALU_DEP_3)
	v_fma_f64 v[21:22], v[19:20], v[6:7], v[2:3]
	v_fma_f64 v[2:3], v[19:20], v[6:7], -v[2:3]
	v_fma_f64 v[6:7], v[0:1], 0.5, v[8:9]
	v_fma_f64 v[0:1], v[0:1], 0.5, -v[8:9]
	s_delay_alu instid0(VALU_DEP_4) | instskip(NEXT) | instid1(VALU_DEP_4)
	v_fma_f64 v[8:9], -v[4:5], v[10:11], v[21:22]
	v_fma_f64 v[2:3], -v[4:5], v[10:11], v[2:3]
	s_delay_alu instid0(VALU_DEP_4) | instskip(NEXT) | instid1(VALU_DEP_4)
	v_fma_f64 v[10:11], v[19:20], v[4:5], v[6:7]
	v_fma_f64 v[0:1], -v[19:20], v[4:5], v[0:1]
	global_load_b128 v[4:7], v[12:13], off offset:4080
	ds_store_2addr_b64 v211, v[10:11], v[8:9] offset0:170 offset1:171
	ds_store_b128 v14, v[0:3] offset:20400
	ds_load_b128 v[0:3], v211 offset:2720
	ds_load_b128 v[8:11], v14 offset:19040
	s_wait_dscnt 0x0
	v_add_f64_e64 v[19:20], v[0:1], -v[8:9]
	v_add_f64_e32 v[21:22], v[2:3], v[10:11]
	v_add_f64_e64 v[2:3], v[2:3], -v[10:11]
	v_add_f64_e32 v[0:1], v[0:1], v[8:9]
	s_delay_alu instid0(VALU_DEP_4) | instskip(NEXT) | instid1(VALU_DEP_4)
	v_mul_f64_e32 v[10:11], 0.5, v[19:20]
	v_mul_f64_e32 v[19:20], 0.5, v[21:22]
	s_delay_alu instid0(VALU_DEP_4) | instskip(SKIP_1) | instid1(VALU_DEP_3)
	v_mul_f64_e32 v[2:3], 0.5, v[2:3]
	s_wait_loadcnt 0x1
	v_mul_f64_e32 v[8:9], v[10:11], v[17:18]
	s_delay_alu instid0(VALU_DEP_2) | instskip(SKIP_1) | instid1(VALU_DEP_3)
	v_fma_f64 v[21:22], v[19:20], v[17:18], v[2:3]
	v_fma_f64 v[2:3], v[19:20], v[17:18], -v[2:3]
	v_fma_f64 v[17:18], v[0:1], 0.5, v[8:9]
	v_fma_f64 v[0:1], v[0:1], 0.5, -v[8:9]
	s_delay_alu instid0(VALU_DEP_4) | instskip(NEXT) | instid1(VALU_DEP_4)
	v_fma_f64 v[21:22], -v[15:16], v[10:11], v[21:22]
	v_fma_f64 v[2:3], -v[15:16], v[10:11], v[2:3]
	global_load_b128 v[8:11], v[12:13], off offset:5440
	v_fma_f64 v[17:18], v[19:20], v[15:16], v[17:18]
	v_fma_f64 v[0:1], -v[19:20], v[15:16], v[0:1]
	ds_store_2addr_b64 v23, v[17:18], v[21:22] offset0:84 offset1:85
	ds_store_b128 v14, v[0:3] offset:19040
	ds_load_b128 v[0:3], v211 offset:4080
	ds_load_b128 v[15:18], v14 offset:17680
	s_wait_dscnt 0x0
	v_add_f64_e64 v[19:20], v[0:1], -v[15:16]
	v_add_f64_e32 v[21:22], v[2:3], v[17:18]
	v_add_f64_e64 v[2:3], v[2:3], -v[17:18]
	v_add_f64_e32 v[0:1], v[0:1], v[15:16]
	s_delay_alu instid0(VALU_DEP_4) | instskip(NEXT) | instid1(VALU_DEP_4)
	v_mul_f64_e32 v[17:18], 0.5, v[19:20]
	v_mul_f64_e32 v[19:20], 0.5, v[21:22]
	s_delay_alu instid0(VALU_DEP_4) | instskip(SKIP_1) | instid1(VALU_DEP_3)
	v_mul_f64_e32 v[2:3], 0.5, v[2:3]
	s_wait_loadcnt 0x1
	v_mul_f64_e32 v[15:16], v[17:18], v[6:7]
	s_delay_alu instid0(VALU_DEP_2) | instskip(SKIP_1) | instid1(VALU_DEP_3)
	v_fma_f64 v[21:22], v[19:20], v[6:7], v[2:3]
	v_fma_f64 v[2:3], v[19:20], v[6:7], -v[2:3]
	v_fma_f64 v[6:7], v[0:1], 0.5, v[15:16]
	v_fma_f64 v[0:1], v[0:1], 0.5, -v[15:16]
	s_delay_alu instid0(VALU_DEP_4) | instskip(NEXT) | instid1(VALU_DEP_4)
	v_fma_f64 v[15:16], -v[4:5], v[17:18], v[21:22]
	v_fma_f64 v[2:3], -v[4:5], v[17:18], v[2:3]
	s_delay_alu instid0(VALU_DEP_4) | instskip(NEXT) | instid1(VALU_DEP_4)
	v_fma_f64 v[17:18], v[19:20], v[4:5], v[6:7]
	v_fma_f64 v[0:1], -v[19:20], v[4:5], v[0:1]
	global_load_b128 v[4:7], v[12:13], off offset:6800
	ds_store_2addr_b64 v23, v[17:18], v[15:16] offset0:254 offset1:255
	ds_store_b128 v14, v[0:3] offset:17680
	ds_load_b128 v[0:3], v211 offset:5440
	ds_load_b128 v[15:18], v14 offset:16320
	s_wait_dscnt 0x0
	v_add_f64_e64 v[19:20], v[0:1], -v[15:16]
	v_add_f64_e32 v[21:22], v[2:3], v[17:18]
	v_add_f64_e64 v[2:3], v[2:3], -v[17:18]
	v_add_f64_e32 v[0:1], v[0:1], v[15:16]
	s_delay_alu instid0(VALU_DEP_4) | instskip(NEXT) | instid1(VALU_DEP_4)
	v_mul_f64_e32 v[17:18], 0.5, v[19:20]
	v_mul_f64_e32 v[19:20], 0.5, v[21:22]
	s_delay_alu instid0(VALU_DEP_4) | instskip(SKIP_1) | instid1(VALU_DEP_3)
	v_mul_f64_e32 v[2:3], 0.5, v[2:3]
	s_wait_loadcnt 0x1
	v_mul_f64_e32 v[15:16], v[17:18], v[10:11]
	s_delay_alu instid0(VALU_DEP_2) | instskip(SKIP_1) | instid1(VALU_DEP_3)
	v_fma_f64 v[21:22], v[19:20], v[10:11], v[2:3]
	v_fma_f64 v[2:3], v[19:20], v[10:11], -v[2:3]
	v_fma_f64 v[10:11], v[0:1], 0.5, v[15:16]
	v_fma_f64 v[0:1], v[0:1], 0.5, -v[15:16]
	s_delay_alu instid0(VALU_DEP_4) | instskip(NEXT) | instid1(VALU_DEP_4)
	v_fma_f64 v[15:16], -v[8:9], v[17:18], v[21:22]
	v_fma_f64 v[2:3], -v[8:9], v[17:18], v[2:3]
	s_delay_alu instid0(VALU_DEP_4) | instskip(NEXT) | instid1(VALU_DEP_4)
	v_fma_f64 v[17:18], v[19:20], v[8:9], v[10:11]
	v_fma_f64 v[0:1], -v[19:20], v[8:9], v[0:1]
	global_load_b128 v[8:11], v[12:13], off offset:8160
	v_add_nc_u32_e32 v19, 0x1000, v211
	ds_store_2addr_b64 v19, v[17:18], v[15:16] offset0:168 offset1:169
	ds_store_b128 v14, v[0:3] offset:16320
	ds_load_b128 v[0:3], v211 offset:6800
	ds_load_b128 v[15:18], v14 offset:14960
	s_wait_dscnt 0x0
	v_add_f64_e64 v[19:20], v[0:1], -v[15:16]
	v_add_f64_e32 v[21:22], v[2:3], v[17:18]
	v_add_f64_e64 v[2:3], v[2:3], -v[17:18]
	v_add_f64_e32 v[0:1], v[0:1], v[15:16]
	s_delay_alu instid0(VALU_DEP_4) | instskip(NEXT) | instid1(VALU_DEP_4)
	v_mul_f64_e32 v[17:18], 0.5, v[19:20]
	v_mul_f64_e32 v[19:20], 0.5, v[21:22]
	s_delay_alu instid0(VALU_DEP_4) | instskip(SKIP_1) | instid1(VALU_DEP_3)
	v_mul_f64_e32 v[2:3], 0.5, v[2:3]
	s_wait_loadcnt 0x1
	v_mul_f64_e32 v[15:16], v[17:18], v[6:7]
	s_delay_alu instid0(VALU_DEP_2) | instskip(SKIP_1) | instid1(VALU_DEP_3)
	v_fma_f64 v[21:22], v[19:20], v[6:7], v[2:3]
	v_fma_f64 v[2:3], v[19:20], v[6:7], -v[2:3]
	v_fma_f64 v[6:7], v[0:1], 0.5, v[15:16]
	v_fma_f64 v[0:1], v[0:1], 0.5, -v[15:16]
	s_delay_alu instid0(VALU_DEP_4) | instskip(NEXT) | instid1(VALU_DEP_4)
	v_fma_f64 v[15:16], -v[4:5], v[17:18], v[21:22]
	v_fma_f64 v[2:3], -v[4:5], v[17:18], v[2:3]
	v_add_nc_u32_e32 v21, 0x1800, v211
	v_fma_f64 v[17:18], v[19:20], v[4:5], v[6:7]
	v_fma_f64 v[0:1], -v[19:20], v[4:5], v[0:1]
	global_load_b128 v[4:7], v[12:13], off offset:9520
	ds_store_2addr_b64 v21, v[17:18], v[15:16] offset0:82 offset1:83
	ds_store_b128 v14, v[0:3] offset:14960
	ds_load_b128 v[0:3], v211 offset:8160
	ds_load_b128 v[15:18], v14 offset:13600
	s_wait_dscnt 0x0
	v_add_f64_e64 v[12:13], v[0:1], -v[15:16]
	v_add_f64_e32 v[19:20], v[2:3], v[17:18]
	v_add_f64_e64 v[2:3], v[2:3], -v[17:18]
	v_add_f64_e32 v[0:1], v[0:1], v[15:16]
	s_delay_alu instid0(VALU_DEP_4) | instskip(NEXT) | instid1(VALU_DEP_4)
	v_mul_f64_e32 v[12:13], 0.5, v[12:13]
	v_mul_f64_e32 v[17:18], 0.5, v[19:20]
	s_delay_alu instid0(VALU_DEP_4) | instskip(SKIP_1) | instid1(VALU_DEP_3)
	v_mul_f64_e32 v[2:3], 0.5, v[2:3]
	s_wait_loadcnt 0x1
	v_mul_f64_e32 v[15:16], v[12:13], v[10:11]
	s_delay_alu instid0(VALU_DEP_2) | instskip(SKIP_1) | instid1(VALU_DEP_3)
	v_fma_f64 v[19:20], v[17:18], v[10:11], v[2:3]
	v_fma_f64 v[2:3], v[17:18], v[10:11], -v[2:3]
	v_fma_f64 v[10:11], v[0:1], 0.5, v[15:16]
	v_fma_f64 v[0:1], v[0:1], 0.5, -v[15:16]
	s_delay_alu instid0(VALU_DEP_4) | instskip(NEXT) | instid1(VALU_DEP_4)
	v_fma_f64 v[15:16], -v[8:9], v[12:13], v[19:20]
	v_fma_f64 v[2:3], -v[8:9], v[12:13], v[2:3]
	s_delay_alu instid0(VALU_DEP_4) | instskip(NEXT) | instid1(VALU_DEP_4)
	v_fma_f64 v[10:11], v[17:18], v[8:9], v[10:11]
	v_fma_f64 v[0:1], -v[17:18], v[8:9], v[0:1]
	ds_store_2addr_b64 v21, v[10:11], v[15:16] offset0:252 offset1:253
	ds_store_b128 v14, v[0:3] offset:13600
	ds_load_b128 v[0:3], v211 offset:9520
	ds_load_b128 v[8:11], v14 offset:12240
	s_wait_dscnt 0x0
	v_add_f64_e64 v[12:13], v[0:1], -v[8:9]
	v_add_f64_e32 v[15:16], v[2:3], v[10:11]
	v_add_f64_e64 v[2:3], v[2:3], -v[10:11]
	v_add_f64_e32 v[0:1], v[0:1], v[8:9]
	s_delay_alu instid0(VALU_DEP_4) | instskip(NEXT) | instid1(VALU_DEP_4)
	v_mul_f64_e32 v[10:11], 0.5, v[12:13]
	v_mul_f64_e32 v[12:13], 0.5, v[15:16]
	s_delay_alu instid0(VALU_DEP_4) | instskip(SKIP_1) | instid1(VALU_DEP_3)
	v_mul_f64_e32 v[2:3], 0.5, v[2:3]
	s_wait_loadcnt 0x0
	v_mul_f64_e32 v[8:9], v[10:11], v[6:7]
	s_delay_alu instid0(VALU_DEP_2) | instskip(SKIP_1) | instid1(VALU_DEP_3)
	v_fma_f64 v[15:16], v[12:13], v[6:7], v[2:3]
	v_fma_f64 v[2:3], v[12:13], v[6:7], -v[2:3]
	v_fma_f64 v[6:7], v[0:1], 0.5, v[8:9]
	v_fma_f64 v[0:1], v[0:1], 0.5, -v[8:9]
	s_delay_alu instid0(VALU_DEP_4) | instskip(NEXT) | instid1(VALU_DEP_4)
	v_fma_f64 v[8:9], -v[4:5], v[10:11], v[15:16]
	v_fma_f64 v[2:3], -v[4:5], v[10:11], v[2:3]
	s_delay_alu instid0(VALU_DEP_4) | instskip(NEXT) | instid1(VALU_DEP_4)
	v_fma_f64 v[6:7], v[12:13], v[4:5], v[6:7]
	v_fma_f64 v[0:1], -v[12:13], v[4:5], v[0:1]
	v_add_nc_u32_e32 v4, 0x2000, v211
	ds_store_2addr_b64 v4, v[6:7], v[8:9] offset0:166 offset1:167
	ds_store_b128 v14, v[0:3] offset:12240
	global_wb scope:SCOPE_SE
	s_wait_dscnt 0x0
	s_barrier_signal -1
	s_barrier_wait -1
	global_inv scope:SCOPE_SE
	s_and_saveexec_b32 s0, vcc_lo
	s_cbranch_execz .LBB0_25
; %bb.23:
	v_mul_lo_u32 v3, s3, v84
	v_mul_lo_u32 v4, s2, v85
	v_mad_co_u64_u32 v[0:1], null, s2, v84, 0
	v_mov_b32_e32 v83, 0
	v_lshlrev_b64_e32 v[11:12], 4, v[80:81]
	v_lshl_add_u32 v2, v82, 4, v210
	v_add_nc_u32_e32 v13, 0x55, v82
	s_delay_alu instid0(VALU_DEP_4)
	v_dual_mov_b32 v16, v83 :: v_dual_add_nc_u32 v15, 0xaa, v82
	v_add3_u32 v1, v1, v4, v3
	v_lshlrev_b64_e32 v[17:18], 4, v[82:83]
	v_mov_b32_e32 v14, v83
	ds_load_b128 v[3:6], v2
	ds_load_b128 v[7:10], v2 offset:1360
	v_lshlrev_b64_e32 v[21:22], 4, v[15:16]
	v_lshlrev_b64_e32 v[0:1], 4, v[0:1]
	v_dual_mov_b32 v26, v83 :: v_dual_add_nc_u32 v25, 0xff, v82
	v_lshlrev_b64_e32 v[19:20], 4, v[13:14]
	v_dual_mov_b32 v28, v83 :: v_dual_add_nc_u32 v27, 0x154, v82
	s_delay_alu instid0(VALU_DEP_4) | instskip(SKIP_3) | instid1(VALU_DEP_3)
	v_add_co_u32 v0, vcc_lo, s6, v0
	s_wait_alu 0xfffd
	v_add_co_ci_u32_e32 v1, vcc_lo, s7, v1, vcc_lo
	v_lshlrev_b64_e32 v[25:26], 4, v[25:26]
	v_add_co_u32 v0, vcc_lo, v0, v11
	s_wait_alu 0xfffd
	s_delay_alu instid0(VALU_DEP_3) | instskip(NEXT) | instid1(VALU_DEP_2)
	v_add_co_ci_u32_e32 v1, vcc_lo, v1, v12, vcc_lo
	v_add_co_u32 v23, vcc_lo, v0, v17
	s_wait_alu 0xfffd
	s_delay_alu instid0(VALU_DEP_2)
	v_add_co_ci_u32_e32 v24, vcc_lo, v1, v18, vcc_lo
	ds_load_b128 v[11:14], v2 offset:2720
	ds_load_b128 v[15:18], v2 offset:4080
	v_add_co_u32 v19, vcc_lo, v0, v19
	s_wait_alu 0xfffd
	v_add_co_ci_u32_e32 v20, vcc_lo, v1, v20, vcc_lo
	v_add_co_u32 v21, vcc_lo, v0, v21
	s_wait_alu 0xfffd
	v_add_co_ci_u32_e32 v22, vcc_lo, v1, v22, vcc_lo
	;; [unrolled: 3-line block ×3, first 2 shown]
	s_wait_dscnt 0x3
	global_store_b128 v[23:24], v[3:6], off
	s_wait_dscnt 0x2
	global_store_b128 v[19:20], v[7:10], off
	s_wait_dscnt 0x1
	global_store_b128 v[21:22], v[11:14], off
	s_wait_dscnt 0x0
	global_store_b128 v[25:26], v[15:18], off
	v_lshlrev_b64_e32 v[3:4], 4, v[27:28]
	v_dual_mov_b32 v12, v83 :: v_dual_add_nc_u32 v11, 0x1a9, v82
	v_dual_mov_b32 v14, v83 :: v_dual_add_nc_u32 v13, 0x1fe, v82
	;; [unrolled: 1-line block ×3, first 2 shown]
	s_delay_alu instid0(VALU_DEP_4)
	v_add_co_u32 v19, vcc_lo, v0, v3
	s_wait_alu 0xfffd
	v_add_co_ci_u32_e32 v20, vcc_lo, v1, v4, vcc_lo
	ds_load_b128 v[3:6], v2 offset:5440
	ds_load_b128 v[7:10], v2 offset:6800
	v_lshlrev_b64_e32 v[21:22], 4, v[11:12]
	v_lshlrev_b64_e32 v[23:24], 4, v[13:14]
	ds_load_b128 v[11:14], v2 offset:8160
	ds_load_b128 v[15:18], v2 offset:9520
	v_lshlrev_b64_e32 v[25:26], 4, v[25:26]
	v_add_nc_u32_e32 v27, 0x2a8, v82
	v_add_co_u32 v21, vcc_lo, v0, v21
	s_wait_alu 0xfffd
	v_add_co_ci_u32_e32 v22, vcc_lo, v1, v22, vcc_lo
	v_add_co_u32 v23, vcc_lo, v0, v23
	s_wait_alu 0xfffd
	v_add_co_ci_u32_e32 v24, vcc_lo, v1, v24, vcc_lo
	;; [unrolled: 3-line block ×3, first 2 shown]
	s_wait_dscnt 0x3
	global_store_b128 v[19:20], v[3:6], off
	s_wait_dscnt 0x2
	global_store_b128 v[21:22], v[7:10], off
	;; [unrolled: 2-line block ×4, first 2 shown]
	v_mov_b32_e32 v12, v83
	v_lshlrev_b64_e32 v[3:4], 4, v[27:28]
	v_dual_mov_b32 v14, v83 :: v_dual_add_nc_u32 v11, 0x2fd, v82
	v_dual_mov_b32 v26, v83 :: v_dual_add_nc_u32 v13, 0x352, v82
	v_add_nc_u32_e32 v25, 0x3a7, v82
	s_delay_alu instid0(VALU_DEP_4)
	v_add_co_u32 v19, vcc_lo, v0, v3
	s_wait_alu 0xfffd
	v_add_co_ci_u32_e32 v20, vcc_lo, v1, v4, vcc_lo
	ds_load_b128 v[3:6], v2 offset:10880
	ds_load_b128 v[7:10], v2 offset:12240
	v_lshlrev_b64_e32 v[21:22], 4, v[11:12]
	v_lshlrev_b64_e32 v[23:24], 4, v[13:14]
	ds_load_b128 v[11:14], v2 offset:13600
	ds_load_b128 v[15:18], v2 offset:14960
	v_lshlrev_b64_e32 v[25:26], 4, v[25:26]
	v_add_nc_u32_e32 v27, 0x3fc, v82
	v_add_co_u32 v21, vcc_lo, v0, v21
	s_wait_alu 0xfffd
	v_add_co_ci_u32_e32 v22, vcc_lo, v1, v22, vcc_lo
	v_add_co_u32 v23, vcc_lo, v0, v23
	s_wait_alu 0xfffd
	v_add_co_ci_u32_e32 v24, vcc_lo, v1, v24, vcc_lo
	;; [unrolled: 3-line block ×3, first 2 shown]
	s_wait_dscnt 0x3
	global_store_b128 v[19:20], v[3:6], off
	s_wait_dscnt 0x2
	global_store_b128 v[21:22], v[7:10], off
	;; [unrolled: 2-line block ×4, first 2 shown]
	v_mov_b32_e32 v14, v83
	v_lshlrev_b64_e32 v[3:4], 4, v[27:28]
	v_dual_mov_b32 v26, v83 :: v_dual_add_nc_u32 v11, 0x451, v82
	v_dual_mov_b32 v12, v83 :: v_dual_add_nc_u32 v13, 0x4a6, v82
	v_add_nc_u32_e32 v25, 0x4fb, v82
	s_delay_alu instid0(VALU_DEP_4)
	v_add_co_u32 v19, vcc_lo, v0, v3
	s_wait_alu 0xfffd
	v_add_co_ci_u32_e32 v20, vcc_lo, v1, v4, vcc_lo
	ds_load_b128 v[3:6], v2 offset:16320
	ds_load_b128 v[7:10], v2 offset:17680
	v_lshlrev_b64_e32 v[21:22], 4, v[11:12]
	v_lshlrev_b64_e32 v[23:24], 4, v[13:14]
	ds_load_b128 v[11:14], v2 offset:19040
	ds_load_b128 v[15:18], v2 offset:20400
	v_lshlrev_b64_e32 v[25:26], 4, v[25:26]
	v_add_co_u32 v21, vcc_lo, v0, v21
	s_wait_alu 0xfffd
	v_add_co_ci_u32_e32 v22, vcc_lo, v1, v22, vcc_lo
	v_add_co_u32 v23, vcc_lo, v0, v23
	s_wait_alu 0xfffd
	v_add_co_ci_u32_e32 v24, vcc_lo, v1, v24, vcc_lo
	;; [unrolled: 3-line block ×3, first 2 shown]
	v_cmp_eq_u32_e32 vcc_lo, 0x54, v82
	s_wait_dscnt 0x3
	global_store_b128 v[19:20], v[3:6], off
	s_wait_dscnt 0x2
	global_store_b128 v[21:22], v[7:10], off
	;; [unrolled: 2-line block ×4, first 2 shown]
	s_and_b32 exec_lo, exec_lo, vcc_lo
	s_cbranch_execz .LBB0_25
; %bb.24:
	ds_load_b128 v[2:5], v2 offset:20416
	s_wait_dscnt 0x0
	global_store_b128 v[0:1], v[2:5], off offset:21760
.LBB0_25:
	s_nop 0
	s_sendmsg sendmsg(MSG_DEALLOC_VGPRS)
	s_endpgm
	.section	.rodata,"a",@progbits
	.p2align	6, 0x0
	.amdhsa_kernel fft_rtc_back_len1360_factors_17_5_16_wgs_255_tpt_85_halfLds_dp_op_CI_CI_unitstride_sbrr_R2C_dirReg
		.amdhsa_group_segment_fixed_size 0
		.amdhsa_private_segment_fixed_size 0
		.amdhsa_kernarg_size 104
		.amdhsa_user_sgpr_count 2
		.amdhsa_user_sgpr_dispatch_ptr 0
		.amdhsa_user_sgpr_queue_ptr 0
		.amdhsa_user_sgpr_kernarg_segment_ptr 1
		.amdhsa_user_sgpr_dispatch_id 0
		.amdhsa_user_sgpr_private_segment_size 0
		.amdhsa_wavefront_size32 1
		.amdhsa_uses_dynamic_stack 0
		.amdhsa_enable_private_segment 0
		.amdhsa_system_sgpr_workgroup_id_x 1
		.amdhsa_system_sgpr_workgroup_id_y 0
		.amdhsa_system_sgpr_workgroup_id_z 0
		.amdhsa_system_sgpr_workgroup_info 0
		.amdhsa_system_vgpr_workitem_id 0
		.amdhsa_next_free_vgpr 230
		.amdhsa_next_free_sgpr 56
		.amdhsa_reserve_vcc 1
		.amdhsa_float_round_mode_32 0
		.amdhsa_float_round_mode_16_64 0
		.amdhsa_float_denorm_mode_32 3
		.amdhsa_float_denorm_mode_16_64 3
		.amdhsa_fp16_overflow 0
		.amdhsa_workgroup_processor_mode 1
		.amdhsa_memory_ordered 1
		.amdhsa_forward_progress 0
		.amdhsa_round_robin_scheduling 0
		.amdhsa_exception_fp_ieee_invalid_op 0
		.amdhsa_exception_fp_denorm_src 0
		.amdhsa_exception_fp_ieee_div_zero 0
		.amdhsa_exception_fp_ieee_overflow 0
		.amdhsa_exception_fp_ieee_underflow 0
		.amdhsa_exception_fp_ieee_inexact 0
		.amdhsa_exception_int_div_zero 0
	.end_amdhsa_kernel
	.text
.Lfunc_end0:
	.size	fft_rtc_back_len1360_factors_17_5_16_wgs_255_tpt_85_halfLds_dp_op_CI_CI_unitstride_sbrr_R2C_dirReg, .Lfunc_end0-fft_rtc_back_len1360_factors_17_5_16_wgs_255_tpt_85_halfLds_dp_op_CI_CI_unitstride_sbrr_R2C_dirReg
                                        ; -- End function
	.section	.AMDGPU.csdata,"",@progbits
; Kernel info:
; codeLenInByte = 15120
; NumSgprs: 58
; NumVgprs: 230
; ScratchSize: 0
; MemoryBound: 0
; FloatMode: 240
; IeeeMode: 1
; LDSByteSize: 0 bytes/workgroup (compile time only)
; SGPRBlocks: 7
; VGPRBlocks: 28
; NumSGPRsForWavesPerEU: 58
; NumVGPRsForWavesPerEU: 230
; Occupancy: 6
; WaveLimiterHint : 1
; COMPUTE_PGM_RSRC2:SCRATCH_EN: 0
; COMPUTE_PGM_RSRC2:USER_SGPR: 2
; COMPUTE_PGM_RSRC2:TRAP_HANDLER: 0
; COMPUTE_PGM_RSRC2:TGID_X_EN: 1
; COMPUTE_PGM_RSRC2:TGID_Y_EN: 0
; COMPUTE_PGM_RSRC2:TGID_Z_EN: 0
; COMPUTE_PGM_RSRC2:TIDIG_COMP_CNT: 0
	.text
	.p2alignl 7, 3214868480
	.fill 96, 4, 3214868480
	.type	__hip_cuid_50c8ca1e7b7ad884,@object ; @__hip_cuid_50c8ca1e7b7ad884
	.section	.bss,"aw",@nobits
	.globl	__hip_cuid_50c8ca1e7b7ad884
__hip_cuid_50c8ca1e7b7ad884:
	.byte	0                               ; 0x0
	.size	__hip_cuid_50c8ca1e7b7ad884, 1

	.ident	"AMD clang version 19.0.0git (https://github.com/RadeonOpenCompute/llvm-project roc-6.4.0 25133 c7fe45cf4b819c5991fe208aaa96edf142730f1d)"
	.section	".note.GNU-stack","",@progbits
	.addrsig
	.addrsig_sym __hip_cuid_50c8ca1e7b7ad884
	.amdgpu_metadata
---
amdhsa.kernels:
  - .args:
      - .actual_access:  read_only
        .address_space:  global
        .offset:         0
        .size:           8
        .value_kind:     global_buffer
      - .offset:         8
        .size:           8
        .value_kind:     by_value
      - .actual_access:  read_only
        .address_space:  global
        .offset:         16
        .size:           8
        .value_kind:     global_buffer
      - .actual_access:  read_only
        .address_space:  global
        .offset:         24
        .size:           8
        .value_kind:     global_buffer
      - .actual_access:  read_only
        .address_space:  global
        .offset:         32
        .size:           8
        .value_kind:     global_buffer
      - .offset:         40
        .size:           8
        .value_kind:     by_value
      - .actual_access:  read_only
        .address_space:  global
        .offset:         48
        .size:           8
        .value_kind:     global_buffer
      - .actual_access:  read_only
        .address_space:  global
        .offset:         56
        .size:           8
        .value_kind:     global_buffer
      - .offset:         64
        .size:           4
        .value_kind:     by_value
      - .actual_access:  read_only
        .address_space:  global
        .offset:         72
        .size:           8
        .value_kind:     global_buffer
      - .actual_access:  read_only
        .address_space:  global
        .offset:         80
        .size:           8
        .value_kind:     global_buffer
      - .actual_access:  read_only
        .address_space:  global
        .offset:         88
        .size:           8
        .value_kind:     global_buffer
      - .actual_access:  write_only
        .address_space:  global
        .offset:         96
        .size:           8
        .value_kind:     global_buffer
    .group_segment_fixed_size: 0
    .kernarg_segment_align: 8
    .kernarg_segment_size: 104
    .language:       OpenCL C
    .language_version:
      - 2
      - 0
    .max_flat_workgroup_size: 255
    .name:           fft_rtc_back_len1360_factors_17_5_16_wgs_255_tpt_85_halfLds_dp_op_CI_CI_unitstride_sbrr_R2C_dirReg
    .private_segment_fixed_size: 0
    .sgpr_count:     58
    .sgpr_spill_count: 0
    .symbol:         fft_rtc_back_len1360_factors_17_5_16_wgs_255_tpt_85_halfLds_dp_op_CI_CI_unitstride_sbrr_R2C_dirReg.kd
    .uniform_work_group_size: 1
    .uses_dynamic_stack: false
    .vgpr_count:     230
    .vgpr_spill_count: 0
    .wavefront_size: 32
    .workgroup_processor_mode: 1
amdhsa.target:   amdgcn-amd-amdhsa--gfx1201
amdhsa.version:
  - 1
  - 2
...

	.end_amdgpu_metadata
